;; amdgpu-corpus repo=ROCm/rocFFT kind=compiled arch=gfx950 opt=O3
	.text
	.amdgcn_target "amdgcn-amd-amdhsa--gfx950"
	.amdhsa_code_object_version 6
	.protected	fft_rtc_back_len864_factors_3_6_16_3_wgs_54_tpt_54_halfLds_dp_ip_CI_sbrr_dirReg ; -- Begin function fft_rtc_back_len864_factors_3_6_16_3_wgs_54_tpt_54_halfLds_dp_ip_CI_sbrr_dirReg
	.globl	fft_rtc_back_len864_factors_3_6_16_3_wgs_54_tpt_54_halfLds_dp_ip_CI_sbrr_dirReg
	.p2align	8
	.type	fft_rtc_back_len864_factors_3_6_16_3_wgs_54_tpt_54_halfLds_dp_ip_CI_sbrr_dirReg,@function
fft_rtc_back_len864_factors_3_6_16_3_wgs_54_tpt_54_halfLds_dp_ip_CI_sbrr_dirReg: ; @fft_rtc_back_len864_factors_3_6_16_3_wgs_54_tpt_54_halfLds_dp_ip_CI_sbrr_dirReg
; %bb.0:
	s_load_dwordx2 s[12:13], s[0:1], 0x18
	s_load_dwordx4 s[4:7], s[0:1], 0x0
	s_load_dwordx2 s[10:11], s[0:1], 0x50
	v_mul_u32_u24_e32 v1, 0x4be, v0
	v_add_u32_sdwa v6, s2, v1 dst_sel:DWORD dst_unused:UNUSED_PAD src0_sel:DWORD src1_sel:WORD_1
	s_waitcnt lgkmcnt(0)
	s_load_dwordx2 s[8:9], s[12:13], 0x0
	v_mov_b32_e32 v4, 0
	v_cmp_lt_u64_e64 s[2:3], s[6:7], 2
	v_mov_b32_e32 v7, v4
	s_and_b64 vcc, exec, s[2:3]
	v_mov_b64_e32 v[2:3], 0
	s_cbranch_vccnz .LBB0_8
; %bb.1:
	s_load_dwordx2 s[2:3], s[0:1], 0x10
	s_add_u32 s14, s12, 8
	s_addc_u32 s15, s13, 0
	s_mov_b64 s[16:17], 1
	v_mov_b64_e32 v[2:3], 0
	s_waitcnt lgkmcnt(0)
	s_add_u32 s18, s2, 8
	s_addc_u32 s19, s3, 0
.LBB0_2:                                ; =>This Inner Loop Header: Depth=1
	s_load_dwordx2 s[20:21], s[18:19], 0x0
                                        ; implicit-def: $vgpr8_vgpr9
	s_waitcnt lgkmcnt(0)
	v_or_b32_e32 v5, s21, v7
	v_cmp_ne_u64_e32 vcc, 0, v[4:5]
	s_and_saveexec_b64 s[2:3], vcc
	s_xor_b64 s[22:23], exec, s[2:3]
	s_cbranch_execz .LBB0_4
; %bb.3:                                ;   in Loop: Header=BB0_2 Depth=1
	v_cvt_f32_u32_e32 v1, s20
	v_cvt_f32_u32_e32 v5, s21
	s_sub_u32 s2, 0, s20
	s_subb_u32 s3, 0, s21
	v_fmac_f32_e32 v1, 0x4f800000, v5
	v_rcp_f32_e32 v1, v1
	s_nop 0
	v_mul_f32_e32 v1, 0x5f7ffffc, v1
	v_mul_f32_e32 v5, 0x2f800000, v1
	v_trunc_f32_e32 v5, v5
	v_fmac_f32_e32 v1, 0xcf800000, v5
	v_cvt_u32_f32_e32 v5, v5
	v_cvt_u32_f32_e32 v1, v1
	v_mul_lo_u32 v8, s2, v5
	v_mul_hi_u32 v10, s2, v1
	v_mul_lo_u32 v9, s3, v1
	v_add_u32_e32 v10, v10, v8
	v_mul_lo_u32 v12, s2, v1
	v_add_u32_e32 v13, v10, v9
	v_mul_hi_u32 v8, v1, v12
	v_mul_hi_u32 v11, v1, v13
	v_mul_lo_u32 v10, v1, v13
	v_mov_b32_e32 v9, v4
	v_lshl_add_u64 v[8:9], v[8:9], 0, v[10:11]
	v_mul_hi_u32 v11, v5, v12
	v_mul_lo_u32 v12, v5, v12
	v_add_co_u32_e32 v8, vcc, v8, v12
	v_mul_hi_u32 v10, v5, v13
	s_nop 0
	v_addc_co_u32_e32 v8, vcc, v9, v11, vcc
	v_mov_b32_e32 v9, v4
	s_nop 0
	v_addc_co_u32_e32 v11, vcc, 0, v10, vcc
	v_mul_lo_u32 v10, v5, v13
	v_lshl_add_u64 v[8:9], v[8:9], 0, v[10:11]
	v_add_co_u32_e32 v1, vcc, v1, v8
	v_mul_lo_u32 v10, s2, v1
	s_nop 0
	v_addc_co_u32_e32 v5, vcc, v5, v9, vcc
	v_mul_lo_u32 v8, s2, v5
	v_mul_hi_u32 v9, s2, v1
	v_add_u32_e32 v8, v9, v8
	v_mul_lo_u32 v9, s3, v1
	v_add_u32_e32 v12, v8, v9
	v_mul_hi_u32 v14, v5, v10
	v_mul_lo_u32 v15, v5, v10
	v_mul_hi_u32 v9, v1, v12
	v_mul_lo_u32 v8, v1, v12
	v_mul_hi_u32 v10, v1, v10
	v_mov_b32_e32 v11, v4
	v_lshl_add_u64 v[8:9], v[10:11], 0, v[8:9]
	v_add_co_u32_e32 v8, vcc, v8, v15
	v_mul_hi_u32 v13, v5, v12
	s_nop 0
	v_addc_co_u32_e32 v8, vcc, v9, v14, vcc
	v_mul_lo_u32 v10, v5, v12
	s_nop 0
	v_addc_co_u32_e32 v11, vcc, 0, v13, vcc
	v_mov_b32_e32 v9, v4
	v_lshl_add_u64 v[8:9], v[8:9], 0, v[10:11]
	v_add_co_u32_e32 v1, vcc, v1, v8
	v_mul_hi_u32 v10, v6, v1
	s_nop 0
	v_addc_co_u32_e32 v5, vcc, v5, v9, vcc
	v_mad_u64_u32 v[8:9], s[2:3], v6, v5, 0
	v_mov_b32_e32 v11, v4
	v_lshl_add_u64 v[8:9], v[10:11], 0, v[8:9]
	v_mad_u64_u32 v[12:13], s[2:3], v7, v1, 0
	v_add_co_u32_e32 v1, vcc, v8, v12
	v_mad_u64_u32 v[10:11], s[2:3], v7, v5, 0
	s_nop 0
	v_addc_co_u32_e32 v8, vcc, v9, v13, vcc
	v_mov_b32_e32 v9, v4
	s_nop 0
	v_addc_co_u32_e32 v11, vcc, 0, v11, vcc
	v_lshl_add_u64 v[8:9], v[8:9], 0, v[10:11]
	v_mul_lo_u32 v1, s21, v8
	v_mul_lo_u32 v5, s20, v9
	v_mad_u64_u32 v[10:11], s[2:3], s20, v8, 0
	v_add3_u32 v1, v11, v5, v1
	v_sub_u32_e32 v5, v7, v1
	v_mov_b32_e32 v11, s21
	v_sub_co_u32_e32 v14, vcc, v6, v10
	v_lshl_add_u64 v[12:13], v[8:9], 0, 1
	s_nop 0
	v_subb_co_u32_e64 v5, s[2:3], v5, v11, vcc
	v_subrev_co_u32_e64 v10, s[2:3], s20, v14
	v_subb_co_u32_e32 v1, vcc, v7, v1, vcc
	s_nop 0
	v_subbrev_co_u32_e64 v5, s[2:3], 0, v5, s[2:3]
	v_cmp_le_u32_e64 s[2:3], s21, v5
	v_cmp_le_u32_e32 vcc, s21, v1
	s_nop 0
	v_cndmask_b32_e64 v11, 0, -1, s[2:3]
	v_cmp_le_u32_e64 s[2:3], s20, v10
	s_nop 1
	v_cndmask_b32_e64 v10, 0, -1, s[2:3]
	v_cmp_eq_u32_e64 s[2:3], s21, v5
	s_nop 1
	v_cndmask_b32_e64 v5, v11, v10, s[2:3]
	v_lshl_add_u64 v[10:11], v[8:9], 0, 2
	v_cmp_ne_u32_e64 s[2:3], 0, v5
	s_nop 1
	v_cndmask_b32_e64 v5, v13, v11, s[2:3]
	v_cndmask_b32_e64 v11, 0, -1, vcc
	v_cmp_le_u32_e32 vcc, s20, v14
	s_nop 1
	v_cndmask_b32_e64 v13, 0, -1, vcc
	v_cmp_eq_u32_e32 vcc, s21, v1
	s_nop 1
	v_cndmask_b32_e32 v1, v11, v13, vcc
	v_cmp_ne_u32_e32 vcc, 0, v1
	v_cndmask_b32_e64 v1, v12, v10, s[2:3]
	s_nop 0
	v_cndmask_b32_e32 v9, v9, v5, vcc
	v_cndmask_b32_e32 v8, v8, v1, vcc
.LBB0_4:                                ;   in Loop: Header=BB0_2 Depth=1
	s_andn2_saveexec_b64 s[2:3], s[22:23]
	s_cbranch_execz .LBB0_6
; %bb.5:                                ;   in Loop: Header=BB0_2 Depth=1
	v_cvt_f32_u32_e32 v1, s20
	s_sub_i32 s22, 0, s20
	v_rcp_iflag_f32_e32 v1, v1
	s_nop 0
	v_mul_f32_e32 v1, 0x4f7ffffe, v1
	v_cvt_u32_f32_e32 v1, v1
	v_mul_lo_u32 v5, s22, v1
	v_mul_hi_u32 v5, v1, v5
	v_add_u32_e32 v1, v1, v5
	v_mul_hi_u32 v1, v6, v1
	v_mul_lo_u32 v5, v1, s20
	v_sub_u32_e32 v5, v6, v5
	v_add_u32_e32 v8, 1, v1
	v_subrev_u32_e32 v9, s20, v5
	v_cmp_le_u32_e32 vcc, s20, v5
	s_nop 1
	v_cndmask_b32_e32 v5, v5, v9, vcc
	v_cndmask_b32_e32 v1, v1, v8, vcc
	v_add_u32_e32 v8, 1, v1
	v_cmp_le_u32_e32 vcc, s20, v5
	v_mov_b32_e32 v9, v4
	s_nop 0
	v_cndmask_b32_e32 v8, v1, v8, vcc
.LBB0_6:                                ;   in Loop: Header=BB0_2 Depth=1
	s_or_b64 exec, exec, s[2:3]
	v_mad_u64_u32 v[10:11], s[2:3], v8, s20, 0
	s_load_dwordx2 s[2:3], s[14:15], 0x0
	v_mul_lo_u32 v1, v9, s20
	v_mul_lo_u32 v5, v8, s21
	v_add3_u32 v1, v11, v5, v1
	v_sub_co_u32_e32 v5, vcc, v6, v10
	s_add_u32 s16, s16, 1
	s_nop 0
	v_subb_co_u32_e32 v1, vcc, v7, v1, vcc
	s_addc_u32 s17, s17, 0
	s_waitcnt lgkmcnt(0)
	v_mul_lo_u32 v1, s2, v1
	v_mul_lo_u32 v6, s3, v5
	v_mad_u64_u32 v[2:3], s[2:3], s2, v5, v[2:3]
	s_add_u32 s14, s14, 8
	v_add3_u32 v3, v6, v3, v1
	s_addc_u32 s15, s15, 0
	v_mov_b64_e32 v[6:7], s[6:7]
	s_add_u32 s18, s18, 8
	v_cmp_ge_u64_e32 vcc, s[16:17], v[6:7]
	s_addc_u32 s19, s19, 0
	s_cbranch_vccnz .LBB0_9
; %bb.7:                                ;   in Loop: Header=BB0_2 Depth=1
	v_mov_b64_e32 v[6:7], v[8:9]
	s_branch .LBB0_2
.LBB0_8:
	v_mov_b64_e32 v[8:9], v[6:7]
.LBB0_9:
	s_lshl_b64 s[2:3], s[6:7], 3
	s_add_u32 s2, s12, s2
	s_addc_u32 s3, s13, s3
	s_load_dwordx2 s[6:7], s[2:3], 0x0
	s_load_dwordx2 s[12:13], s[0:1], 0x20
	s_mov_b32 s2, 0x4bda130
                                        ; implicit-def: $vgpr109
                                        ; implicit-def: $vgpr106
                                        ; implicit-def: $vgpr107
                                        ; implicit-def: $vgpr110
	s_waitcnt lgkmcnt(0)
	v_mul_lo_u32 v1, s6, v9
	v_mul_lo_u32 v4, s7, v8
	v_mad_u64_u32 v[2:3], s[0:1], s6, v8, v[2:3]
	v_add3_u32 v3, v4, v3, v1
	v_mul_hi_u32 v1, v0, s2
	v_mul_u32_u24_e32 v1, 54, v1
	v_sub_u32_e32 v104, v0, v1
	v_cmp_gt_u64_e32 vcc, s[12:13], v[8:9]
	v_cmp_le_u64_e64 s[0:1], s[12:13], v[8:9]
	v_add_u32_e32 v105, 54, v104
	s_and_saveexec_b64 s[2:3], s[0:1]
	s_xor_b64 s[0:1], exec, s[2:3]
; %bb.10:
	v_add_u32_e32 v109, 54, v104
	v_add_u32_e32 v106, 0x6c, v104
	;; [unrolled: 1-line block ×4, first 2 shown]
; %bb.11:
	s_or_saveexec_b64 s[2:3], s[0:1]
	v_lshl_add_u64 v[94:95], v[2:3], 4, s[10:11]
                                        ; implicit-def: $vgpr22_vgpr23
                                        ; implicit-def: $vgpr32_vgpr33
                                        ; implicit-def: $vgpr14_vgpr15
                                        ; implicit-def: $vgpr36_vgpr37
                                        ; implicit-def: $vgpr40_vgpr41
                                        ; implicit-def: $vgpr48_vgpr49
                                        ; implicit-def: $vgpr52_vgpr53
                                        ; implicit-def: $vgpr80_vgpr81
                                        ; implicit-def: $vgpr84_vgpr85
                                        ; implicit-def: $vgpr2_vgpr3
                                        ; implicit-def: $vgpr72_vgpr73
                                        ; implicit-def: $vgpr76_vgpr77
                                        ; implicit-def: $vgpr92_vgpr93
                                        ; implicit-def: $vgpr88_vgpr89
                                        ; implicit-def: $vgpr6_vgpr7
                                        ; implicit-def: $vgpr28_vgpr29
                                        ; implicit-def: $vgpr18_vgpr19
                                        ; implicit-def: $vgpr10_vgpr11
	s_xor_b64 exec, exec, s[2:3]
	s_cbranch_execz .LBB0_15
; %bb.12:
	v_mad_u64_u32 v[0:1], s[0:1], s8, v104, 0
	v_mov_b32_e32 v2, v1
	v_mad_u64_u32 v[2:3], s[0:1], s9, v104, v[2:3]
	v_add_u32_e32 v5, 0x120, v104
	v_mov_b32_e32 v1, v2
	v_mad_u64_u32 v[2:3], s[0:1], s8, v5, 0
	v_mov_b32_e32 v4, v3
	v_mad_u64_u32 v[4:5], s[0:1], s9, v5, v[4:5]
	v_mov_b32_e32 v3, v4
	v_lshl_add_u64 v[0:1], v[0:1], 4, v[94:95]
	v_lshl_add_u64 v[2:3], v[2:3], 4, v[94:95]
	global_load_dwordx4 v[8:11], v[0:1], off
	global_load_dwordx4 v[20:23], v[2:3], off
	v_or_b32_e32 v3, 0x240, v104
	v_mad_u64_u32 v[0:1], s[0:1], s8, v3, 0
	v_mov_b32_e32 v2, v1
	v_mad_u64_u32 v[2:3], s[0:1], s9, v3, v[2:3]
	v_mov_b32_e32 v1, v2
	;; [unrolled: 2-line block ×4, first 2 shown]
	v_lshl_add_u64 v[0:1], v[0:1], 4, v[94:95]
	v_lshl_add_u64 v[2:3], v[2:3], 4, v[94:95]
	global_load_dwordx4 v[30:33], v[0:1], off
	global_load_dwordx4 v[12:15], v[2:3], off
	v_add_u32_e32 v3, 0x156, v104
	v_mad_u64_u32 v[0:1], s[0:1], s8, v3, 0
	v_mov_b32_e32 v2, v1
	v_mad_u64_u32 v[2:3], s[0:1], s9, v3, v[2:3]
	v_add_u32_e32 v5, 0x276, v104
	v_mov_b32_e32 v1, v2
	v_mad_u64_u32 v[2:3], s[0:1], s8, v5, 0
	v_mov_b32_e32 v4, v3
	v_mad_u64_u32 v[4:5], s[0:1], s9, v5, v[4:5]
	v_lshl_add_u64 v[0:1], v[0:1], 4, v[94:95]
	v_mov_b32_e32 v3, v4
	v_add_u32_e32 v106, 0x6c, v104
	v_lshl_add_u64 v[2:3], v[2:3], 4, v[94:95]
	global_load_dwordx4 v[34:37], v[0:1], off
	global_load_dwordx4 v[38:41], v[2:3], off
	v_mad_u64_u32 v[0:1], s[0:1], s8, v106, 0
	v_mov_b32_e32 v2, v1
	v_mad_u64_u32 v[2:3], s[0:1], s9, v106, v[2:3]
	v_add_u32_e32 v5, 0x18c, v104
	v_mov_b32_e32 v1, v2
	v_mad_u64_u32 v[2:3], s[0:1], s8, v5, 0
	v_mov_b32_e32 v4, v3
	v_mad_u64_u32 v[4:5], s[0:1], s9, v5, v[4:5]
	v_mov_b32_e32 v3, v4
	v_lshl_add_u64 v[0:1], v[0:1], 4, v[94:95]
	v_lshl_add_u64 v[2:3], v[2:3], 4, v[94:95]
	global_load_dwordx4 v[16:19], v[0:1], off
	global_load_dwordx4 v[46:49], v[2:3], off
	v_add_u32_e32 v3, 0x2ac, v104
	v_mad_u64_u32 v[0:1], s[0:1], s8, v3, 0
	v_mov_b32_e32 v2, v1
	v_mad_u64_u32 v[2:3], s[0:1], s9, v3, v[2:3]
	v_add_u32_e32 v107, 0xa2, v104
	v_mov_b32_e32 v1, v2
	v_mad_u64_u32 v[2:3], s[0:1], s8, v107, 0
	v_mov_b32_e32 v4, v3
	v_mad_u64_u32 v[4:5], s[0:1], s9, v107, v[4:5]
	v_mov_b32_e32 v3, v4
	v_lshl_add_u64 v[0:1], v[0:1], 4, v[94:95]
	v_lshl_add_u64 v[2:3], v[2:3], 4, v[94:95]
	global_load_dwordx4 v[50:53], v[0:1], off
	global_load_dwordx4 v[26:29], v[2:3], off
	v_add_u32_e32 v3, 0x1c2, v104
	v_mad_u64_u32 v[0:1], s[0:1], s8, v3, 0
	v_mov_b32_e32 v2, v1
	v_mad_u64_u32 v[2:3], s[0:1], s9, v3, v[2:3]
	v_mov_b32_e32 v1, v2
	v_add_u32_e32 v3, 0x2e2, v104
	v_lshl_add_u64 v[4:5], v[0:1], 4, v[94:95]
	v_mad_u64_u32 v[0:1], s[0:1], s8, v3, 0
	v_mov_b32_e32 v2, v1
	v_mad_u64_u32 v[2:3], s[0:1], s9, v3, v[2:3]
	v_mov_b32_e32 v1, v2
	v_add_u32_e32 v110, 0xd8, v104
	v_lshl_add_u64 v[6:7], v[0:1], 4, v[94:95]
	;; [unrolled: 6-line block ×4, first 2 shown]
	v_mad_u64_u32 v[0:1], s[0:1], s8, v3, 0
	v_mov_b32_e32 v2, v1
	v_mad_u64_u32 v[2:3], s[0:1], s9, v3, v[2:3]
	v_mov_b32_e32 v1, v2
	v_lshl_add_u64 v[44:45], v[0:1], 4, v[94:95]
	global_load_dwordx4 v[78:81], v[4:5], off
	global_load_dwordx4 v[82:85], v[6:7], off
	;; [unrolled: 1-line block ×5, first 2 shown]
	v_cmp_gt_u32_e64 s[0:1], 18, v104
                                        ; implicit-def: $vgpr4_vgpr5
                                        ; implicit-def: $vgpr86_vgpr87
                                        ; implicit-def: $vgpr90_vgpr91
	s_and_saveexec_b64 s[6:7], s[0:1]
	s_cbranch_execz .LBB0_14
; %bb.13:
	v_add_u32_e32 v7, 0x10e, v104
	v_mad_u64_u32 v[4:5], s[0:1], s8, v7, 0
	v_mov_b32_e32 v6, v5
	v_mad_u64_u32 v[6:7], s[0:1], s9, v7, v[6:7]
	v_mov_b32_e32 v5, v6
	v_add_u32_e32 v7, 0x22e, v104
	v_lshl_add_u64 v[24:25], v[4:5], 4, v[94:95]
	v_mad_u64_u32 v[4:5], s[0:1], s8, v7, 0
	v_mov_b32_e32 v6, v5
	v_mad_u64_u32 v[6:7], s[0:1], s9, v7, v[6:7]
	v_mov_b32_e32 v5, v6
	v_lshl_add_u64 v[42:43], v[4:5], 4, v[94:95]
	global_load_dwordx4 v[4:7], v[24:25], off
	global_load_dwordx4 v[86:89], v[42:43], off
	v_add_u32_e32 v43, 0x34e, v104
	v_mad_u64_u32 v[24:25], s[0:1], s8, v43, 0
	v_mov_b32_e32 v42, v25
	v_mad_u64_u32 v[42:43], s[0:1], s9, v43, v[42:43]
	v_mov_b32_e32 v25, v42
	v_lshl_add_u64 v[24:25], v[24:25], 4, v[94:95]
	global_load_dwordx4 v[90:93], v[24:25], off
.LBB0_14:
	s_or_b64 exec, exec, s[6:7]
	v_mov_b32_e32 v109, v105
.LBB0_15:
	s_or_b64 exec, exec, s[2:3]
	s_waitcnt vmcnt(12)
	v_add_f64 v[42:43], v[20:21], v[30:31]
	s_mov_b32 s0, 0xe8584caa
	v_add_f64 v[24:25], v[20:21], v[8:9]
	v_fmac_f64_e32 v[8:9], -0.5, v[42:43]
	v_add_f64 v[42:43], v[22:23], -v[32:33]
	s_mov_b32 s1, 0xbfebb67a
	s_mov_b32 s3, 0x3febb67a
	;; [unrolled: 1-line block ×3, first 2 shown]
	s_waitcnt vmcnt(9)
	v_add_f64 v[54:55], v[34:35], v[38:39]
	v_fma_f64 v[44:45], s[0:1], v[42:43], v[8:9]
	v_fmac_f64_e32 v[8:9], s[2:3], v[42:43]
	v_add_f64 v[42:43], v[12:13], v[34:35]
	v_fmac_f64_e32 v[12:13], -0.5, v[54:55]
	v_add_f64 v[54:55], v[36:37], -v[40:41]
	s_waitcnt vmcnt(6)
	v_add_f64 v[58:59], v[46:47], v[50:51]
	v_fma_f64 v[56:57], s[0:1], v[54:55], v[12:13]
	v_fmac_f64_e32 v[12:13], s[2:3], v[54:55]
	v_add_f64 v[54:55], v[46:47], v[16:17]
	v_fmac_f64_e32 v[16:17], -0.5, v[58:59]
	v_add_f64 v[58:59], v[48:49], -v[52:53]
	s_waitcnt vmcnt(3)
	v_add_f64 v[62:63], v[78:79], v[82:83]
	v_add_f64 v[24:25], v[30:31], v[24:25]
	v_mad_u32_u24 v114, v104, 24, 0
	v_fma_f64 v[60:61], s[0:1], v[58:59], v[16:17]
	v_fmac_f64_e32 v[16:17], s[2:3], v[58:59]
	v_add_f64 v[58:59], v[78:79], v[26:27]
	v_fmac_f64_e32 v[26:27], -0.5, v[62:63]
	ds_write2_b64 v114, v[24:25], v[44:45] offset1:1
	v_add_f64 v[24:25], v[80:81], -v[84:85]
	v_fma_f64 v[44:45], s[0:1], v[24:25], v[26:27]
	v_fmac_f64_e32 v[26:27], s[2:3], v[24:25]
	s_waitcnt vmcnt(0)
	v_add_f64 v[24:25], v[70:71], v[74:75]
	v_add_f64 v[42:43], v[42:43], v[38:39]
	ds_write_b64 v114, v[8:9] offset:16
	v_mad_i32_i24 v112, v109, 24, 0
	v_add_f64 v[8:9], v[0:1], v[70:71]
	v_fmac_f64_e32 v[0:1], -0.5, v[24:25]
	v_add_f64 v[24:25], v[72:73], -v[76:77]
	ds_write2_b64 v112, v[42:43], v[56:57] offset1:1
	v_fma_f64 v[100:101], s[0:1], v[24:25], v[0:1]
	v_fmac_f64_e32 v[0:1], s[2:3], v[24:25]
	v_add_f64 v[24:25], v[50:51], v[54:55]
	v_add_f64 v[42:43], v[82:83], v[58:59]
	;; [unrolled: 1-line block ×3, first 2 shown]
	ds_write_b64 v112, v[12:13] offset:16
	v_mad_i32_i24 v113, v106, 24, 0
	v_add_f64 v[8:9], v[86:87], v[4:5]
	v_mad_i32_i24 v12, v107, 24, 0
	ds_write2_b64 v113, v[24:25], v[60:61] offset1:1
	ds_write_b64 v113, v[16:17] offset:16
	ds_write2_b64 v12, v[42:43], v[44:45] offset1:1
	v_add_f64 v[42:43], v[90:91], v[8:9]
	v_add_f64 v[8:9], v[90:91], v[86:87]
	v_fmac_f64_e32 v[4:5], -0.5, v[8:9]
	v_add_f64 v[8:9], v[88:89], -v[92:93]
	v_fma_f64 v[44:45], s[0:1], v[8:9], v[4:5]
	v_fmac_f64_e32 v[4:5], s[2:3], v[8:9]
	v_mad_i32_i24 v8, v110, 24, 0
	v_cmp_gt_u32_e64 s[0:1], 18, v104
	ds_write_b64 v12, v[26:27] offset:16
	ds_write2_b64 v8, v[96:97], v[100:101] offset1:1
	ds_write_b64 v8, v[0:1] offset:16
	s_and_saveexec_b64 s[2:3], s[0:1]
	s_cbranch_execz .LBB0_17
; %bb.16:
	v_add_u32_e32 v8, 0x1950, v114
	ds_write2_b64 v8, v[42:43], v[44:45] offset1:1
	ds_write_b64 v114, v[4:5] offset:6496
.LBB0_17:
	s_or_b64 exec, exec, s[2:3]
	v_lshlrev_b32_e32 v8, 4, v104
	v_sub_u32_e32 v111, v114, v8
	v_add_u32_e32 v8, 0x400, v111
	s_waitcnt lgkmcnt(0)
	; wave barrier
	s_waitcnt lgkmcnt(0)
	ds_read2_b64 v[66:69], v8 offset0:70 offset1:160
	v_add_u32_e32 v8, 0x800, v111
	ds_read2_b64 v[62:65], v8 offset0:86 offset1:176
	v_add_u32_e32 v8, 0xc00, v111
	v_lshlrev_b32_e32 v12, 4, v109
	ds_read2_b64 v[58:61], v8 offset0:102 offset1:192
	v_add_u32_e32 v13, 0x1000, v111
	v_sub_u32_e32 v8, v112, v12
	ds_read2_b64 v[24:27], v111 offset1:144
	ds_read2_b64 v[54:57], v13 offset0:118 offset1:208
	ds_read_b64 v[98:99], v8
	ds_read_b64 v[102:103], v111 offset:6192
	v_mul_i32_i24_e32 v9, 24, v107
	v_mul_i32_i24_e32 v8, 24, v110
	v_cmp_gt_u32_e64 s[2:3], 36, v104
	v_lshlrev_b32_e32 v115, 4, v106
	s_and_saveexec_b64 s[6:7], s[2:3]
	s_cbranch_execz .LBB0_19
; %bb.18:
	v_add_u32_e32 v1, 0x600, v111
	v_sub_u32_e32 v0, v113, v115
	ds_read2_b64 v[116:119], v1 offset0:60 offset1:204
	ds_read2_b64 v[42:45], v13 offset0:28 offset1:172
	ds_read_b64 v[96:97], v0
	ds_read_b64 v[4:5], v111 offset:6624
	s_waitcnt lgkmcnt(3)
	v_mov_b64_e32 v[100:101], v[116:117]
	v_mov_b64_e32 v[0:1], v[118:119]
.LBB0_19:
	s_or_b64 exec, exec, s[6:7]
	v_add_f64 v[16:17], v[22:23], v[32:33]
	s_mov_b32 s6, 0xe8584caa
	v_sub_u32_e32 v116, 0, v12
	v_add_f64 v[12:13], v[22:23], v[10:11]
	v_fmac_f64_e32 v[10:11], -0.5, v[16:17]
	v_add_f64 v[16:17], v[20:21], -v[30:31]
	s_mov_b32 s7, 0x3febb67a
	s_mov_b32 s11, 0xbfebb67a
	;; [unrolled: 1-line block ×3, first 2 shown]
	v_add_f64 v[20:21], v[36:37], v[40:41]
	v_fma_f64 v[30:31], s[6:7], v[16:17], v[10:11]
	v_fmac_f64_e32 v[10:11], s[10:11], v[16:17]
	v_add_f64 v[16:17], v[14:15], v[36:37]
	v_fmac_f64_e32 v[14:15], -0.5, v[20:21]
	v_add_f64 v[20:21], v[34:35], -v[38:39]
	v_add_f64 v[12:13], v[32:33], v[12:13]
	v_fma_f64 v[32:33], s[6:7], v[20:21], v[14:15]
	v_fmac_f64_e32 v[14:15], s[10:11], v[20:21]
	v_add_f64 v[20:21], v[48:49], v[18:19]
	v_add_f64 v[34:35], v[52:53], v[20:21]
	;; [unrolled: 1-line block ×3, first 2 shown]
	v_fmac_f64_e32 v[18:19], -0.5, v[20:21]
	v_add_f64 v[20:21], v[46:47], -v[50:51]
	v_fma_f64 v[36:37], s[6:7], v[20:21], v[18:19]
	v_fmac_f64_e32 v[18:19], s[10:11], v[20:21]
	v_add_f64 v[20:21], v[80:81], v[28:29]
	v_add_f64 v[38:39], v[84:85], v[20:21]
	;; [unrolled: 1-line block ×3, first 2 shown]
	v_fmac_f64_e32 v[28:29], -0.5, v[20:21]
	v_add_f64 v[20:21], v[78:79], -v[82:83]
	v_fma_f64 v[46:47], s[6:7], v[20:21], v[28:29]
	v_fmac_f64_e32 v[28:29], s[10:11], v[20:21]
	v_add_f64 v[20:21], v[2:3], v[72:73]
	v_add_f64 v[16:17], v[16:17], v[40:41]
	;; [unrolled: 1-line block ×4, first 2 shown]
	v_fmac_f64_e32 v[2:3], -0.5, v[20:21]
	v_add_f64 v[20:21], v[70:71], -v[74:75]
	v_add_f64 v[22:23], v[92:93], v[88:89]
	v_fma_f64 v[48:49], s[6:7], v[20:21], v[2:3]
	v_fmac_f64_e32 v[2:3], s[10:11], v[20:21]
	v_add_f64 v[20:21], v[88:89], v[6:7]
	v_fmac_f64_e32 v[6:7], -0.5, v[22:23]
	v_add_f64 v[50:51], v[86:87], -v[90:91]
	v_add_f64 v[20:21], v[92:93], v[20:21]
	v_fma_f64 v[22:23], s[6:7], v[50:51], v[6:7]
	v_fmac_f64_e32 v[6:7], s[10:11], v[50:51]
	v_add_u32_e32 v108, 0x10e, v104
	v_add_u32_e32 v9, 0, v9
	;; [unrolled: 1-line block ×3, first 2 shown]
	s_waitcnt lgkmcnt(0)
	; wave barrier
	s_waitcnt lgkmcnt(0)
	ds_write2_b64 v114, v[12:13], v[30:31] offset1:1
	ds_write_b64 v114, v[10:11] offset:16
	ds_write2_b64 v112, v[16:17], v[32:33] offset1:1
	ds_write_b64 v112, v[14:15] offset:16
	;; [unrolled: 2-line block ×5, first 2 shown]
	s_and_saveexec_b64 s[6:7], s[0:1]
	s_cbranch_execz .LBB0_21
; %bb.20:
	v_mad_u32_u24 v8, v108, 24, 0
	ds_write2_b64 v8, v[20:21], v[22:23] offset1:1
	ds_write_b64 v8, v[6:7] offset:16
.LBB0_21:
	s_or_b64 exec, exec, s[6:7]
	v_add_u32_e32 v12, 0x400, v111
	s_waitcnt lgkmcnt(0)
	; wave barrier
	s_waitcnt lgkmcnt(0)
	ds_read2_b64 v[32:35], v12 offset0:70 offset1:160
	v_add_u32_e32 v12, 0x800, v111
	ds_read2_b64 v[28:31], v12 offset0:86 offset1:176
	v_add_u32_e32 v12, 0xc00, v111
	v_add_u32_e32 v36, 0x1000, v111
	;; [unrolled: 1-line block ×3, first 2 shown]
	ds_read2_b64 v[8:11], v111 offset1:144
	ds_read2_b64 v[16:19], v12 offset0:102 offset1:192
	ds_read2_b64 v[12:15], v36 offset0:118 offset1:208
	ds_read_b64 v[46:47], v112
	ds_read_b64 v[50:51], v111 offset:6192
	s_and_saveexec_b64 s[6:7], s[2:3]
	s_cbranch_execz .LBB0_23
; %bb.22:
	v_add_u32_e32 v3, 0x600, v111
	v_sub_u32_e32 v2, v113, v115
	ds_read2_b64 v[70:73], v3 offset0:60 offset1:204
	ds_read2_b64 v[20:23], v36 offset0:28 offset1:172
	ds_read_b64 v[40:41], v2
	ds_read_b64 v[6:7], v111 offset:6624
	s_waitcnt lgkmcnt(3)
	v_mov_b64_e32 v[48:49], v[70:71]
	v_mov_b64_e32 v[2:3], v[72:73]
.LBB0_23:
	s_or_b64 exec, exec, s[6:7]
	s_movk_i32 s6, 0xab
	v_mul_lo_u16_sdwa v36, v104, s6 dst_sel:DWORD dst_unused:UNUSED_PAD src0_sel:BYTE_0 src1_sel:DWORD
	v_mul_lo_u16_sdwa v70, v109, s6 dst_sel:DWORD dst_unused:UNUSED_PAD src0_sel:BYTE_0 src1_sel:DWORD
	v_lshrrev_b16_e32 v113, 9, v36
	v_lshrrev_b16_e32 v163, 9, v70
	v_mul_lo_u16_e32 v36, 3, v113
	v_mul_lo_u16_e32 v70, 3, v163
	v_sub_u16_e32 v162, v104, v36
	v_mov_b32_e32 v52, 5
	v_sub_u16_e32 v164, v109, v70
	v_mul_u32_u24_sdwa v36, v162, v52 dst_sel:DWORD dst_unused:UNUSED_PAD src0_sel:BYTE_0 src1_sel:DWORD
	v_mul_u32_u24_sdwa v70, v164, v52 dst_sel:DWORD dst_unused:UNUSED_PAD src0_sel:BYTE_0 src1_sel:DWORD
	v_mul_lo_u16_sdwa v71, v106, s6 dst_sel:DWORD dst_unused:UNUSED_PAD src0_sel:BYTE_0 src1_sel:DWORD
	v_lshlrev_b32_e32 v53, 4, v36
	v_lshlrev_b32_e32 v70, 4, v70
	v_lshrrev_b16_e32 v90, 9, v71
	global_load_dwordx4 v[36:39], v53, s[4:5] offset:16
	global_load_dwordx4 v[78:81], v70, s[4:5]
	global_load_dwordx4 v[82:85], v53, s[4:5] offset:32
	global_load_dwordx4 v[86:89], v70, s[4:5] offset:16
	global_load_dwordx4 v[114:117], v53, s[4:5] offset:48
	global_load_dwordx4 v[118:121], v70, s[4:5] offset:32
	global_load_dwordx4 v[122:125], v53, s[4:5] offset:64
	global_load_dwordx4 v[126:129], v53, s[4:5]
	global_load_dwordx4 v[130:133], v70, s[4:5] offset:48
	v_mul_lo_u16_e32 v53, 3, v90
	v_sub_u16_e32 v91, v106, v53
	v_mul_u32_u24_sdwa v52, v91, v52 dst_sel:DWORD dst_unused:UNUSED_PAD src0_sel:BYTE_0 src1_sel:DWORD
	v_lshlrev_b32_e32 v52, 4, v52
	global_load_dwordx4 v[134:137], v70, s[4:5] offset:64
	global_load_dwordx4 v[138:141], v52, s[4:5]
	global_load_dwordx4 v[142:145], v52, s[4:5] offset:16
	global_load_dwordx4 v[146:149], v52, s[4:5] offset:32
	;; [unrolled: 1-line block ×4, first 2 shown]
	s_mov_b32 s6, 0xe8584caa
	s_mov_b32 s7, 0xbfebb67a
	;; [unrolled: 1-line block ×4, first 2 shown]
	s_waitcnt lgkmcnt(0)
	; wave barrier
	s_waitcnt vmcnt(12) lgkmcnt(0)
	v_mul_f64 v[92:93], v[30:31], v[84:85]
	v_mul_f64 v[84:85], v[64:65], v[84:85]
	s_waitcnt vmcnt(11)
	v_mul_f64 v[70:71], v[28:29], v[88:89]
	v_mul_f64 v[72:73], v[34:35], v[38:39]
	;; [unrolled: 1-line block ×6, first 2 shown]
	v_fmac_f64_e32 v[38:39], v[66:67], v[78:79]
	v_fma_f64 v[32:33], v[32:33], v[78:79], -v[80:81]
	v_fma_f64 v[78:79], v[30:31], v[82:83], -v[84:85]
	s_waitcnt vmcnt(3)
	v_mul_f64 v[84:85], v[0:1], v[144:145]
	v_mul_f64 v[74:75], v[18:19], v[116:117]
	v_fmac_f64_e32 v[72:73], v[68:69], v[36:37]
	v_fmac_f64_e32 v[92:93], v[64:65], v[82:83]
	v_mul_f64 v[64:65], v[2:3], v[144:145]
	v_fmac_f64_e32 v[70:71], v[62:63], v[86:87]
	v_fma_f64 v[66:67], v[28:29], v[86:87], -v[88:89]
	s_waitcnt vmcnt(1)
	v_mul_f64 v[62:63], v[22:23], v[152:153]
	v_fma_f64 v[28:29], v[2:3], v[142:143], -v[84:85]
	s_waitcnt vmcnt(0)
	v_mul_f64 v[2:3], v[4:5], v[156:157]
	v_mul_f64 v[116:117], v[60:61], v[116:117]
	;; [unrolled: 1-line block ×5, first 2 shown]
	v_fmac_f64_e32 v[74:75], v[60:61], v[114:115]
	v_fmac_f64_e32 v[64:65], v[0:1], v[142:143]
	;; [unrolled: 1-line block ×3, first 2 shown]
	v_mul_f64 v[0:1], v[44:45], v[152:153]
	v_fma_f64 v[44:45], v[6:7], v[154:155], -v[2:3]
	v_add_f64 v[2:3], v[24:25], v[72:73]
	v_mul_f64 v[160:161], v[14:15], v[124:125]
	v_fma_f64 v[76:77], v[34:35], v[36:37], -v[52:53]
	v_mul_f64 v[34:35], v[56:57], v[124:125]
	v_mul_f64 v[124:125], v[26:27], v[128:129]
	;; [unrolled: 1-line block ×3, first 2 shown]
	v_fma_f64 v[60:61], v[18:19], v[114:115], -v[116:117]
	v_fmac_f64_e32 v[68:69], v[26:27], v[126:127]
	v_fma_f64 v[26:27], v[48:49], v[138:139], -v[30:31]
	v_fma_f64 v[30:31], v[20:21], v[146:147], -v[86:87]
	v_add_f64 v[20:21], v[2:3], v[74:75]
	v_add_f64 v[2:3], v[72:73], v[74:75]
	v_fmac_f64_e32 v[24:25], -0.5, v[2:3]
	v_add_f64 v[2:3], v[76:77], -v[60:61]
	v_fmac_f64_e32 v[160:161], v[56:57], v[122:123]
	v_fma_f64 v[18:19], v[14:15], v[122:123], -v[34:35]
	v_fma_f64 v[34:35], v[22:23], v[150:151], -v[0:1]
	v_fma_f64 v[22:23], s[6:7], v[2:3], v[24:25]
	v_fmac_f64_e32 v[24:25], s[10:11], v[2:3]
	v_add_f64 v[2:3], v[68:69], v[92:93]
	v_fmac_f64_e32 v[82:83], v[42:43], v[146:147]
	v_mul_f64 v[0:1], v[6:7], v[156:157]
	v_add_f64 v[42:43], v[2:3], v[160:161]
	v_add_f64 v[2:3], v[92:93], v[160:161]
	v_fmac_f64_e32 v[0:1], v[4:5], v[154:155]
	v_fmac_f64_e32 v[68:69], -0.5, v[2:3]
	v_add_f64 v[4:5], v[78:79], -v[18:19]
	v_fma_f64 v[10:11], v[10:11], v[126:127], -v[124:125]
	v_fma_f64 v[2:3], s[6:7], v[4:5], v[68:69]
	v_fmac_f64_e32 v[68:69], s[10:11], v[4:5]
	v_add_f64 v[4:5], v[78:79], v[18:19]
	v_mul_f64 v[36:37], v[12:13], v[132:133]
	v_mul_f64 v[52:53], v[54:55], v[132:133]
	;; [unrolled: 1-line block ×4, first 2 shown]
	v_fma_f64 v[4:5], -0.5, v[4:5], v[10:11]
	v_add_f64 v[48:49], v[92:93], -v[160:161]
	v_mul_f64 v[132:133], v[102:103], v[136:137]
	v_fmac_f64_e32 v[36:37], v[54:55], v[130:131]
	v_fma_f64 v[14:15], v[12:13], v[130:131], -v[52:53]
	v_fmac_f64_e32 v[128:129], v[102:103], v[134:135]
	v_fma_f64 v[6:7], s[10:11], v[48:49], v[4:5]
	v_add_f64 v[52:53], v[20:21], v[42:43]
	v_add_f64 v[102:103], v[20:21], -v[42:43]
	v_add_f64 v[20:21], v[98:99], v[70:71]
	v_mul_f64 v[158:159], v[16:17], v[120:121]
	v_fmac_f64_e32 v[4:5], s[6:7], v[48:49]
	v_mul_f64 v[48:49], v[6:7], s[6:7]
	v_add_f64 v[42:43], v[20:21], v[36:37]
	v_add_f64 v[20:21], v[70:71], v[36:37]
	v_fmac_f64_e32 v[158:159], v[58:59], v[118:119]
	v_fma_f64 v[12:13], v[50:51], v[134:135], -v[132:133]
	v_fmac_f64_e32 v[48:49], 0.5, v[2:3]
	v_mul_f64 v[50:51], v[4:5], s[6:7]
	v_fmac_f64_e32 v[98:99], -0.5, v[20:21]
	v_add_f64 v[20:21], v[66:67], -v[14:15]
	v_mul_f64 v[120:121], v[58:59], v[120:121]
	v_add_f64 v[54:55], v[22:23], v[48:49]
	v_fmac_f64_e32 v[50:51], -0.5, v[68:69]
	v_add_f64 v[114:115], v[22:23], -v[48:49]
	v_fma_f64 v[48:49], s[6:7], v[20:21], v[98:99]
	v_fmac_f64_e32 v[98:99], s[10:11], v[20:21]
	v_add_f64 v[20:21], v[38:39], v[158:159]
	v_fma_f64 v[16:17], v[16:17], v[118:119], -v[120:121]
	v_fmac_f64_e32 v[80:81], v[100:101], v[138:139]
	v_add_f64 v[100:101], v[24:25], v[50:51]
	v_add_f64 v[116:117], v[24:25], -v[50:51]
	v_add_f64 v[50:51], v[20:21], v[128:129]
	v_add_f64 v[20:21], v[158:159], v[128:129]
	v_fmac_f64_e32 v[38:39], -0.5, v[20:21]
	v_add_f64 v[22:23], v[16:17], -v[12:13]
	v_fma_f64 v[20:21], s[6:7], v[22:23], v[38:39]
	v_fmac_f64_e32 v[38:39], s[10:11], v[22:23]
	v_add_f64 v[22:23], v[16:17], v[12:13]
	v_fma_f64 v[22:23], -0.5, v[22:23], v[32:33]
	v_add_f64 v[56:57], v[158:159], -v[128:129]
	v_fma_f64 v[24:25], s[10:11], v[56:57], v[22:23]
	v_fmac_f64_e32 v[22:23], s[6:7], v[56:57]
	v_mul_f64 v[58:59], v[22:23], s[6:7]
	v_add_f64 v[118:119], v[42:43], v[50:51]
	v_fmac_f64_e32 v[58:59], -0.5, v[38:39]
	v_add_f64 v[124:125], v[42:43], -v[50:51]
	v_add_f64 v[42:43], v[64:65], v[62:63]
	v_add_f64 v[122:123], v[98:99], v[58:59]
	v_add_f64 v[128:129], v[98:99], -v[58:59]
	v_fma_f64 v[58:59], -0.5, v[42:43], v[96:97]
	v_add_f64 v[42:43], v[28:29], -v[34:35]
	v_mul_f64 v[56:57], v[24:25], s[6:7]
	v_fma_f64 v[84:85], s[6:7], v[42:43], v[58:59]
	v_fmac_f64_e32 v[58:59], s[10:11], v[42:43]
	v_add_f64 v[42:43], v[82:83], v[0:1]
	v_fmac_f64_e32 v[56:57], 0.5, v[20:21]
	v_fma_f64 v[42:43], -0.5, v[42:43], v[80:81]
	v_add_f64 v[50:51], v[30:31], -v[44:45]
	v_add_f64 v[120:121], v[48:49], v[56:57]
	v_add_f64 v[126:127], v[48:49], -v[56:57]
	v_fma_f64 v[48:49], s[6:7], v[50:51], v[42:43]
	v_fmac_f64_e32 v[42:43], s[10:11], v[50:51]
	v_add_f64 v[50:51], v[30:31], v[44:45]
	v_fma_f64 v[50:51], -0.5, v[50:51], v[26:27]
	v_add_f64 v[86:87], v[82:83], -v[0:1]
	v_mov_b32_e32 v98, 3
	v_fma_f64 v[56:57], s[10:11], v[86:87], v[50:51]
	v_fmac_f64_e32 v[50:51], s[6:7], v[86:87]
	v_mul_u32_u24_e32 v86, 0x90, v113
	v_lshlrev_b32_sdwa v87, v98, v162 dst_sel:DWORD dst_unused:UNUSED_PAD src0_sel:DWORD src1_sel:BYTE_0
	v_add3_u32 v92, 0, v86, v87
	v_mul_f64 v[86:87], v[56:57], s[6:7]
	v_mul_f64 v[88:89], v[50:51], s[6:7]
	v_fmac_f64_e32 v[86:87], 0.5, v[48:49]
	v_fmac_f64_e32 v[88:89], -0.5, v[42:43]
	v_mul_u32_u24_e32 v93, 0x90, v163
	v_lshlrev_b32_sdwa v99, v98, v164 dst_sel:DWORD dst_unused:UNUSED_PAD src0_sel:DWORD src1_sel:BYTE_0
	ds_write2_b64 v92, v[52:53], v[54:55] offset1:3
	v_add_f64 v[52:53], v[84:85], -v[86:87]
	v_add_f64 v[54:55], v[58:59], -v[88:89]
	v_add3_u32 v93, 0, v93, v99
	ds_write2_b64 v92, v[100:101], v[102:103] offset0:6 offset1:9
	ds_write2_b64 v92, v[114:115], v[116:117] offset0:12 offset1:15
	ds_write2_b64 v93, v[118:119], v[120:121] offset1:3
	ds_write2_b64 v93, v[122:123], v[124:125] offset0:6 offset1:9
	ds_write2_b64 v93, v[126:127], v[128:129] offset0:12 offset1:15
	s_and_saveexec_b64 s[12:13], s[2:3]
	s_cbranch_execz .LBB0_25
; %bb.24:
	v_add_f64 v[96:97], v[96:97], v[64:65]
	v_add_f64 v[80:81], v[80:81], v[82:83]
	;; [unrolled: 1-line block ×5, first 2 shown]
	v_mul_u32_u24_e32 v84, 0x90, v90
	v_lshlrev_b32_sdwa v85, v98, v91 dst_sel:DWORD dst_unused:UNUSED_PAD src0_sel:DWORD src1_sel:BYTE_0
	v_add_f64 v[80:81], v[96:97], -v[0:1]
	v_add_f64 v[0:1], v[96:97], v[0:1]
	v_add3_u32 v84, 0, v84, v85
	v_add_f64 v[58:59], v[58:59], v[88:89]
	ds_write2_b64 v84, v[0:1], v[82:83] offset1:3
	ds_write2_b64 v84, v[58:59], v[80:81] offset0:6 offset1:9
	ds_write2_b64 v84, v[52:53], v[54:55] offset0:12 offset1:15
.LBB0_25:
	s_or_b64 exec, exec, s[12:13]
	v_add_f64 v[58:59], v[76:77], v[60:61]
	v_mul_f64 v[6:7], v[6:7], 0.5
	v_add_f64 v[0:1], v[8:9], v[76:77]
	v_fmac_f64_e32 v[8:9], -0.5, v[58:59]
	v_add_f64 v[58:59], v[72:73], -v[74:75]
	v_fmac_f64_e32 v[6:7], s[10:11], v[2:3]
	v_mul_f64 v[2:3], v[4:5], -0.5
	v_add_f64 v[0:1], v[0:1], v[60:61]
	v_fma_f64 v[60:61], s[10:11], v[58:59], v[8:9]
	v_fmac_f64_e32 v[8:9], s[6:7], v[58:59]
	v_add_f64 v[10:11], v[10:11], v[78:79]
	v_fmac_f64_e32 v[2:3], s[10:11], v[68:69]
	v_add_f64 v[10:11], v[10:11], v[18:19]
	v_add_f64 v[68:69], v[8:9], v[2:3]
	v_add_f64 v[80:81], v[8:9], -v[2:3]
	v_add_f64 v[2:3], v[66:67], v[14:15]
	v_add_f64 v[72:73], v[0:1], v[10:11]
	v_add_f64 v[76:77], v[0:1], -v[10:11]
	v_add_f64 v[0:1], v[46:47], v[66:67]
	v_fmac_f64_e32 v[46:47], -0.5, v[2:3]
	v_add_f64 v[2:3], v[70:71], -v[36:37]
	v_fma_f64 v[4:5], s[10:11], v[2:3], v[46:47]
	v_fmac_f64_e32 v[46:47], s[6:7], v[2:3]
	v_add_f64 v[2:3], v[32:33], v[16:17]
	v_add_f64 v[0:1], v[0:1], v[14:15]
	;; [unrolled: 1-line block ×4, first 2 shown]
	v_mul_f64 v[8:9], v[22:23], -0.5
	v_add_f64 v[86:87], v[0:1], -v[2:3]
	v_add_f64 v[0:1], v[28:29], v[34:35]
	v_add_f64 v[74:75], v[60:61], v[6:7]
	v_add_f64 v[78:79], v[60:61], -v[6:7]
	v_mul_f64 v[6:7], v[24:25], 0.5
	v_fmac_f64_e32 v[8:9], s[10:11], v[38:39]
	v_fma_f64 v[24:25], -0.5, v[0:1], v[40:41]
	v_add_f64 v[0:1], v[64:65], -v[62:63]
	v_add_f64 v[84:85], v[46:47], v[8:9]
	v_add_f64 v[96:97], v[46:47], -v[8:9]
	v_fma_f64 v[46:47], s[10:11], v[0:1], v[24:25]
	v_fmac_f64_e32 v[24:25], s[6:7], v[0:1]
	v_mul_f64 v[60:61], v[56:57], 0.5
	s_waitcnt lgkmcnt(0)
	; wave barrier
	s_waitcnt lgkmcnt(0)
	v_lshl_add_u32 v103, v106, 3, 0
	v_lshl_add_u32 v113, v107, 3, 0
	;; [unrolled: 1-line block ×3, first 2 shown]
	ds_read_b64 v[0:1], v111
	ds_read_b64 v[38:39], v103
	;; [unrolled: 1-line block ×4, first 2 shown]
	v_fmac_f64_e32 v[6:7], s[10:11], v[20:21]
	v_fmac_f64_e32 v[60:61], s[10:11], v[48:49]
	v_mul_f64 v[48:49], v[50:51], -0.5
	v_add_u32_e32 v62, 0x800, v111
	v_add_u32_e32 v66, 0x1000, v111
	;; [unrolled: 1-line block ×3, first 2 shown]
	v_add_f64 v[82:83], v[4:5], v[6:7]
	v_add_f64 v[88:89], v[4:5], -v[6:7]
	v_fmac_f64_e32 v[48:49], s[10:11], v[42:43]
	v_lshl_add_u32 v102, v104, 3, 0
	ds_read_b64 v[42:43], v112
	ds_read_b64 v[22:23], v102 offset:2160
	ds_read2_b64 v[18:21], v62 offset0:68 offset1:122
	ds_read2_b64 v[2:5], v62 offset0:176 offset1:230
	;; [unrolled: 1-line block ×5, first 2 shown]
	v_add_f64 v[56:57], v[46:47], -v[60:61]
	v_add_f64 v[58:59], v[24:25], -v[48:49]
	s_waitcnt lgkmcnt(0)
	; wave barrier
	s_waitcnt lgkmcnt(0)
	ds_write2_b64 v92, v[72:73], v[74:75] offset1:3
	ds_write2_b64 v92, v[68:69], v[76:77] offset0:6 offset1:9
	ds_write2_b64 v92, v[78:79], v[80:81] offset0:12 offset1:15
	ds_write2_b64 v93, v[70:71], v[82:83] offset1:3
	ds_write2_b64 v93, v[84:85], v[86:87] offset0:6 offset1:9
	ds_write2_b64 v93, v[88:89], v[96:97] offset0:12 offset1:15
	s_and_saveexec_b64 s[6:7], s[2:3]
	s_cbranch_execz .LBB0_27
; %bb.26:
	v_add_f64 v[28:29], v[40:41], v[28:29]
	v_add_f64 v[26:27], v[26:27], v[30:31]
	;; [unrolled: 1-line block ×5, first 2 shown]
	v_add_f64 v[26:27], v[28:29], -v[26:27]
	v_mov_b32_e32 v29, 3
	v_mul_u32_u24_e32 v28, 0x90, v90
	v_lshlrev_b32_sdwa v29, v29, v91 dst_sel:DWORD dst_unused:UNUSED_PAD src0_sel:DWORD src1_sel:BYTE_0
	v_add_f64 v[34:35], v[46:47], v[60:61]
	v_add3_u32 v28, 0, v28, v29
	v_add_f64 v[24:25], v[24:25], v[48:49]
	ds_write2_b64 v28, v[30:31], v[34:35] offset1:3
	ds_write2_b64 v28, v[24:25], v[26:27] offset0:6 offset1:9
	ds_write2_b64 v28, v[56:57], v[58:59] offset0:12 offset1:15
.LBB0_27:
	s_or_b64 exec, exec, s[6:7]
	v_mov_b32_e32 v24, 57
	v_mul_lo_u16_sdwa v24, v104, v24 dst_sel:DWORD dst_unused:UNUSED_PAD src0_sel:BYTE_0 src1_sel:DWORD
	v_lshrrev_b16_e32 v67, 10, v24
	v_mul_lo_u16_e32 v24, 18, v67
	v_sub_u16_e32 v115, v104, v24
	v_mov_b32_e32 v24, 15
	v_mul_u32_u24_sdwa v24, v115, v24 dst_sel:DWORD dst_unused:UNUSED_PAD src0_sel:BYTE_0 src1_sel:DWORD
	v_lshlrev_b32_e32 v28, 4, v24
	s_waitcnt lgkmcnt(0)
	; wave barrier
	s_waitcnt lgkmcnt(0)
	global_load_dwordx4 v[44:47], v28, s[4:5] offset:240
	global_load_dwordx4 v[48:51], v28, s[4:5] offset:256
	;; [unrolled: 1-line block ×15, first 2 shown]
	ds_read_b64 v[34:35], v111
	ds_read_b64 v[40:41], v103
	ds_read_b64 v[60:61], v113
	ds_read_b64 v[64:65], v114
	ds_read_b64 v[92:93], v112
	ds_read_b64 v[100:101], v102 offset:2160
	ds_read2_b64 v[136:139], v62 offset0:68 offset1:122
	ds_read2_b64 v[28:31], v62 offset0:176 offset1:230
	;; [unrolled: 1-line block ×5, first 2 shown]
	s_mov_b32 s10, 0x667f3bcd
	s_mov_b32 s11, 0x3fe6a09e
	;; [unrolled: 1-line block ×10, first 2 shown]
	v_mul_u32_u24_e32 v67, 0x120, v67
	v_or_b32_sdwa v67, v67, v115 dst_sel:DWORD dst_unused:UNUSED_PAD src0_sel:DWORD src1_sel:BYTE_0
	v_lshl_add_u32 v115, v67, 3, 0
	s_waitcnt lgkmcnt(0)
	; wave barrier
	s_waitcnt vmcnt(14) lgkmcnt(0)
	v_mul_f64 v[152:153], v[92:93], v[46:47]
	v_mul_f64 v[46:47], v[42:43], v[46:47]
	s_waitcnt vmcnt(13)
	v_mul_f64 v[154:155], v[40:41], v[50:51]
	v_mul_f64 v[50:51], v[38:39], v[50:51]
	s_waitcnt vmcnt(12)
	;; [unrolled: 3-line block ×3, first 2 shown]
	v_mul_f64 v[162:163], v[136:137], v[82:83]
	v_fmac_f64_e32 v[152:153], v[42:43], v[44:45]
	v_fma_f64 v[44:45], v[92:93], v[44:45], -v[46:47]
	s_waitcnt vmcnt(5)
	v_mul_f64 v[92:93], v[140:141], v[98:99]
	v_fmac_f64_e32 v[154:155], v[38:39], v[48:49]
	v_mul_f64 v[38:39], v[14:15], v[98:99]
	v_fma_f64 v[40:41], v[40:41], v[48:49], -v[50:51]
	s_waitcnt vmcnt(4)
	v_mul_f64 v[48:49], v[142:143], v[118:119]
	v_mul_f64 v[50:51], v[16:17], v[118:119]
	s_waitcnt vmcnt(1)
	v_mul_f64 v[118:119], v[148:149], v[130:131]
	v_mul_f64 v[158:159], v[64:65], v[74:75]
	;; [unrolled: 1-line block ×10, first 2 shown]
	v_fmac_f64_e32 v[156:157], v[36:37], v[68:69]
	v_mul_f64 v[36:37], v[10:11], v[122:123]
	v_fma_f64 v[60:61], v[60:61], v[68:69], -v[70:71]
	v_mul_f64 v[68:69], v[146:147], v[126:127]
	v_mul_f64 v[70:71], v[12:13], v[126:127]
	;; [unrolled: 1-line block ×3, first 2 shown]
	v_fmac_f64_e32 v[162:163], v[18:19], v[80:81]
	v_fmac_f64_e32 v[92:93], v[14:15], v[96:97]
	v_fma_f64 v[14:15], v[140:141], v[96:97], -v[38:39]
	v_fmac_f64_e32 v[48:49], v[16:17], v[116:117]
	v_fma_f64 v[16:17], v[142:143], v[116:117], -v[50:51]
	v_fmac_f64_e32 v[118:119], v[6:7], v[128:129]
	s_waitcnt vmcnt(0)
	v_mul_f64 v[50:51], v[150:151], v[134:135]
	v_mul_f64 v[86:87], v[20:21], v[86:87]
	;; [unrolled: 1-line block ×3, first 2 shown]
	v_fmac_f64_e32 v[158:159], v[32:33], v[72:73]
	v_fma_f64 v[32:33], v[64:65], v[72:73], -v[74:75]
	v_fmac_f64_e32 v[160:161], v[22:23], v[76:77]
	v_fma_f64 v[22:23], v[100:101], v[76:77], -v[78:79]
	v_fma_f64 v[18:19], v[136:137], v[80:81], -v[82:83]
	v_fmac_f64_e32 v[164:165], v[20:21], v[84:85]
	v_fmac_f64_e32 v[46:47], v[4:5], v[88:89]
	v_fma_f64 v[4:5], v[30:31], v[88:89], -v[90:91]
	v_fmac_f64_e32 v[68:69], v[12:13], v[124:125]
	v_fma_f64 v[12:13], v[146:147], v[124:125], -v[70:71]
	v_fma_f64 v[6:7], v[148:149], v[128:129], -v[122:123]
	v_fmac_f64_e32 v[50:51], v[8:9], v[132:133]
	v_mul_f64 v[8:9], v[8:9], v[134:135]
	v_add_f64 v[64:65], v[154:155], -v[92:93]
	v_add_f64 v[14:15], v[40:41], -v[14:15]
	;; [unrolled: 1-line block ×3, first 2 shown]
	v_fma_f64 v[20:21], v[138:139], v[84:85], -v[86:87]
	v_fmac_f64_e32 v[42:43], v[2:3], v[24:25]
	v_fmac_f64_e32 v[98:99], v[10:11], v[120:121]
	v_fma_f64 v[10:11], v[144:145], v[120:121], -v[36:37]
	v_fma_f64 v[8:9], v[150:151], v[132:133], -v[8:9]
	v_fma_f64 v[70:71], v[154:155], 2.0, -v[64:65]
	v_fma_f64 v[38:39], v[40:41], 2.0, -v[14:15]
	v_add_f64 v[6:7], v[18:19], -v[6:7]
	v_fma_f64 v[40:41], v[162:163], 2.0, -v[72:73]
	v_add_f64 v[46:47], v[152:153], -v[46:47]
	v_add_f64 v[4:5], v[44:45], -v[4:5]
	;; [unrolled: 1-line block ×9, first 2 shown]
	v_fma_f64 v[18:19], v[18:19], 2.0, -v[6:7]
	v_fma_f64 v[74:75], v[152:153], 2.0, -v[46:47]
	;; [unrolled: 1-line block ×6, first 2 shown]
	v_add_f64 v[8:9], v[20:21], -v[8:9]
	v_fma_f64 v[82:83], v[164:165], 2.0, -v[50:51]
	v_add_f64 v[40:41], v[70:71], -v[40:41]
	v_add_f64 v[68:69], v[4:5], -v[68:69]
	;; [unrolled: 1-line block ×4, first 2 shown]
	v_fma_f64 v[60:61], v[60:61], 2.0, -v[16:17]
	v_fma_f64 v[20:21], v[20:21], 2.0, -v[8:9]
	v_add_f64 v[84:85], v[42:43], v[36:37]
	v_add_f64 v[44:45], v[38:39], -v[18:19]
	v_fma_f64 v[18:19], v[70:71], 2.0, -v[40:41]
	v_add_f64 v[70:71], v[14:15], -v[72:73]
	v_add_f64 v[72:73], v[74:75], -v[78:79]
	;; [unrolled: 1-line block ×3, first 2 shown]
	v_add_f64 v[12:13], v[46:47], v[12:13]
	v_fma_f64 v[4:5], v[4:5], 2.0, -v[68:69]
	v_add_f64 v[90:91], v[80:81], -v[82:83]
	v_add_f64 v[8:9], v[48:49], v[8:9]
	v_fma_f64 v[16:17], v[16:17], 2.0, -v[92:93]
	v_fma_f64 v[0:1], v[0:1], 2.0, -v[42:43]
	;; [unrolled: 1-line block ×4, first 2 shown]
	v_add_f64 v[6:7], v[64:65], v[6:7]
	v_fma_f64 v[88:89], v[74:75], 2.0, -v[72:73]
	v_fma_f64 v[42:43], v[76:77], 2.0, -v[22:23]
	;; [unrolled: 1-line block ×3, first 2 shown]
	v_add_f64 v[20:21], v[60:61], -v[20:21]
	v_fma_f64 v[46:47], v[80:81], 2.0, -v[90:91]
	v_fma_f64 v[96:97], v[48:49], 2.0, -v[8:9]
	v_fma_f64 v[50:51], s[12:13], v[16:17], v[4:5]
	v_add_f64 v[10:11], v[0:1], -v[10:11]
	v_fma_f64 v[64:65], v[64:65], 2.0, -v[6:7]
	v_mul_f64 v[78:79], v[6:7], s[10:11]
	v_fma_f64 v[6:7], s[10:11], v[6:7], v[84:85]
	v_add_f64 v[48:49], v[88:89], -v[46:47]
	v_fma_f64 v[46:47], s[12:13], v[96:97], v[76:77]
	v_fmac_f64_e32 v[50:51], s[12:13], v[96:97]
	v_add_f64 v[96:97], v[72:73], v[20:21]
	v_add_f64 v[98:99], v[10:11], v[44:45]
	v_fmac_f64_e32 v[6:7], s[10:11], v[70:71]
	v_fmac_f64_e32 v[46:47], s[10:11], v[16:17]
	v_fma_f64 v[120:121], v[72:73], 2.0, -v[96:97]
	v_fma_f64 v[72:73], s[10:11], v[8:9], v[12:13]
	v_fma_f64 v[0:1], v[0:1], 2.0, -v[10:11]
	v_fma_f64 v[14:15], v[14:15], 2.0, -v[70:71]
	;; [unrolled: 1-line block ×3, first 2 shown]
	v_mul_f64 v[80:81], v[70:71], s[10:11]
	v_fma_f64 v[70:71], v[84:85], 2.0, -v[6:7]
	v_fma_f64 v[84:85], v[76:77], 2.0, -v[46:47]
	v_fma_f64 v[76:77], s[10:11], v[92:93], v[68:69]
	v_fmac_f64_e32 v[72:73], s[10:11], v[92:93]
	v_fma_f64 v[82:83], v[60:61], 2.0, -v[20:21]
	v_add_f64 v[18:19], v[0:1], -v[18:19]
	v_mul_f64 v[60:61], v[64:65], s[10:11]
	v_fma_f64 v[64:65], s[12:13], v[64:65], v[86:87]
	v_fma_f64 v[100:101], v[88:89], 2.0, -v[48:49]
	v_fmac_f64_e32 v[76:77], s[12:13], v[8:9]
	v_fma_f64 v[88:89], v[12:13], 2.0, -v[72:73]
	v_fma_f64 v[16:17], s[12:13], v[120:121], v[10:11]
	s_mov_b32 s13, 0xbfd87de2
	s_mov_b32 s12, s6
	v_fma_f64 v[0:1], v[0:1], 2.0, -v[18:19]
	v_fmac_f64_e32 v[64:65], s[10:11], v[14:15]
	v_add_f64 v[118:119], v[22:23], -v[90:91]
	v_fma_f64 v[90:91], v[68:69], 2.0, -v[76:77]
	v_fma_f64 v[20:21], s[12:13], v[88:89], v[70:71]
	v_mul_f64 v[74:75], v[14:15], s[10:11]
	v_fma_f64 v[14:15], v[86:87], 2.0, -v[64:65]
	v_fma_f64 v[86:87], v[4:5], 2.0, -v[50:51]
	v_add_f64 v[4:5], v[0:1], -v[100:101]
	v_fmac_f64_e32 v[20:21], s[14:15], v[90:91]
	v_add_f64 v[82:83], v[42:43], -v[82:83]
	v_fma_f64 v[122:123], v[22:23], 2.0, -v[118:119]
	v_fma_f64 v[8:9], v[0:1], 2.0, -v[4:5]
	v_fma_f64 v[12:13], s[2:3], v[84:85], v[14:15]
	v_fma_f64 v[22:23], v[70:71], 2.0, -v[20:21]
	v_fma_f64 v[70:71], s[6:7], v[46:47], v[64:65]
	v_fma_f64 v[0:1], s[14:15], v[72:73], v[6:7]
	v_fmac_f64_e32 v[12:13], s[6:7], v[86:87]
	v_fmac_f64_e32 v[16:17], s[10:11], v[122:123]
	v_add_f64 v[68:69], v[18:19], v[82:83]
	v_fmac_f64_e32 v[70:71], s[14:15], v[50:51]
	v_fma_f64 v[92:93], s[10:11], v[96:97], v[98:99]
	v_fmac_f64_e32 v[0:1], s[6:7], v[76:77]
	v_fma_f64 v[14:15], v[14:15], 2.0, -v[12:13]
	v_fma_f64 v[10:11], v[10:11], 2.0, -v[16:17]
	;; [unrolled: 1-line block ×4, first 2 shown]
	v_fmac_f64_e32 v[92:93], s[10:11], v[118:119]
	v_fma_f64 v[6:7], v[6:7], 2.0, -v[0:1]
	v_add_u32_e32 v116, 0x400, v115
	v_add_u32_e32 v117, 0xc00, v111
	v_fma_f64 v[98:99], v[98:99], 2.0, -v[92:93]
	ds_write2_b64 v115, v[8:9], v[14:15] offset1:18
	ds_write2_b64 v115, v[10:11], v[22:23] offset0:36 offset1:54
	ds_write2_b64 v115, v[18:19], v[64:65] offset0:72 offset1:90
	;; [unrolled: 1-line block ×7, first 2 shown]
	s_waitcnt lgkmcnt(0)
	; wave barrier
	s_waitcnt lgkmcnt(0)
	ds_read2_b64 v[8:11], v62 offset0:32 offset1:86
	ds_read2_b64 v[4:7], v117 offset0:120 offset1:192
	ds_read_b64 v[64:65], v112
	ds_read2_b64 v[12:15], v66 offset0:118 offset1:172
	ds_read2_b64 v[16:19], v62 offset0:140 offset1:194
	;; [unrolled: 1-line block ×3, first 2 shown]
	ds_read_b64 v[62:63], v111
	ds_read_b64 v[66:67], v103
	;; [unrolled: 1-line block ×4, first 2 shown]
	v_mul_f64 v[98:99], v[120:121], s[10:11]
	v_mul_f64 v[100:101], v[122:123], s[10:11]
	;; [unrolled: 1-line block ×4, first 2 shown]
	s_and_saveexec_b64 s[10:11], s[0:1]
	s_cbranch_execz .LBB0_29
; %bb.28:
	ds_read_b64 v[52:53], v111 offset:4464
	ds_read_b64 v[0:1], v102 offset:2160
	;; [unrolled: 1-line block ×3, first 2 shown]
.LBB0_29:
	s_or_b64 exec, exec, s[10:11]
	v_mul_f64 v[2:3], v[2:3], v[26:27]
	v_fma_f64 v[2:3], v[28:29], v[24:25], -v[2:3]
	v_add_f64 v[2:3], v[34:35], -v[2:3]
	v_add_f64 v[28:29], v[2:3], -v[30:31]
	v_fma_f64 v[24:25], v[34:35], 2.0, -v[2:3]
	v_fma_f64 v[2:3], v[2:3], 2.0, -v[28:29]
	;; [unrolled: 1-line block ×3, first 2 shown]
	v_add_f64 v[32:33], v[2:3], -v[74:75]
	v_add_f64 v[32:33], v[32:33], -v[60:61]
	;; [unrolled: 1-line block ×3, first 2 shown]
	v_fma_f64 v[2:3], v[2:3], 2.0, -v[32:33]
	v_add_f64 v[34:35], v[26:27], -v[40:41]
	v_fma_f64 v[40:41], s[2:3], v[86:87], v[2:3]
	v_fma_f64 v[24:25], v[24:25], 2.0, -v[26:27]
	v_fma_f64 v[26:27], v[26:27], 2.0, -v[34:35]
	v_fmac_f64_e32 v[40:41], s[12:13], v[84:85]
	v_fma_f64 v[30:31], v[38:39], 2.0, -v[44:45]
	v_add_f64 v[36:37], v[28:29], v[80:81]
	v_fma_f64 v[38:39], v[42:43], 2.0, -v[82:83]
	v_fma_f64 v[42:43], v[2:3], 2.0, -v[40:41]
	v_add_f64 v[2:3], v[26:27], -v[100:101]
	v_add_f64 v[30:31], v[24:25], -v[30:31]
	;; [unrolled: 1-line block ×4, first 2 shown]
	v_fma_f64 v[50:51], s[6:7], v[50:51], v[32:33]
	v_add_f64 v[2:3], v[34:35], v[96:97]
	v_fma_f64 v[24:25], v[24:25], 2.0, -v[30:31]
	v_fma_f64 v[28:29], v[28:29], 2.0, -v[36:37]
	v_fmac_f64_e32 v[50:51], s[2:3], v[46:47]
	v_add_f64 v[46:47], v[2:3], -v[92:93]
	v_fma_f64 v[2:3], s[14:15], v[76:77], v[36:37]
	v_add_f64 v[38:39], v[24:25], -v[38:39]
	v_fma_f64 v[60:61], s[12:13], v[90:91], v[28:29]
	v_fmac_f64_e32 v[2:3], s[12:13], v[72:73]
	v_fma_f64 v[24:25], v[24:25], 2.0, -v[38:39]
	v_fmac_f64_e32 v[60:61], s[2:3], v[88:89]
	v_add_f64 v[48:49], v[30:31], -v[48:49]
	v_fma_f64 v[32:33], v[32:33], 2.0, -v[50:51]
	v_fma_f64 v[36:37], v[36:37], 2.0, -v[2:3]
	v_fma_f64 v[26:27], v[26:27], 2.0, -v[44:45]
	v_fma_f64 v[28:29], v[28:29], 2.0, -v[60:61]
	v_fma_f64 v[30:31], v[30:31], 2.0, -v[48:49]
	v_fma_f64 v[34:35], v[34:35], 2.0, -v[46:47]
	s_waitcnt lgkmcnt(0)
	; wave barrier
	s_waitcnt lgkmcnt(0)
	ds_write2_b64 v115, v[24:25], v[42:43] offset1:18
	ds_write2_b64 v115, v[26:27], v[28:29] offset0:36 offset1:54
	ds_write2_b64 v115, v[30:31], v[32:33] offset0:72 offset1:90
	;; [unrolled: 1-line block ×7, first 2 shown]
	v_add_u32_e32 v36, 0x800, v111
	v_add_u32_e32 v32, 0x1000, v111
	;; [unrolled: 1-line block ×3, first 2 shown]
	s_waitcnt lgkmcnt(0)
	; wave barrier
	s_waitcnt lgkmcnt(0)
	ds_read2_b64 v[28:31], v36 offset0:32 offset1:86
	ds_read2_b64 v[24:27], v117 offset0:120 offset1:192
	ds_read_b64 v[74:75], v112
	ds_read2_b64 v[32:35], v32 offset0:118 offset1:172
	ds_read2_b64 v[36:39], v36 offset0:140 offset1:194
	;; [unrolled: 1-line block ×3, first 2 shown]
	ds_read_b64 v[72:73], v111
	ds_read_b64 v[76:77], v103
	;; [unrolled: 1-line block ×4, first 2 shown]
	s_and_saveexec_b64 s[2:3], s[0:1]
	s_cbranch_execz .LBB0_31
; %bb.30:
	ds_read_b64 v[56:57], v111 offset:4464
	ds_read_b64 v[2:3], v102 offset:2160
	;; [unrolled: 1-line block ×3, first 2 shown]
.LBB0_31:
	s_or_b64 exec, exec, s[2:3]
	s_and_saveexec_b64 s[2:3], vcc
	s_cbranch_execz .LBB0_34
; %bb.32:
	v_lshlrev_b32_e32 v60, 1, v110
	v_mov_b32_e32 v61, 0
	v_lshl_add_u64 v[44:45], v[60:61], 4, s[4:5]
	s_mov_b64 s[2:3], 0x11d0
	v_add_co_u32_e32 v84, vcc, 0x1000, v44
	v_lshl_add_u64 v[82:83], v[44:45], 0, s[2:3]
	s_nop 0
	v_addc_co_u32_e32 v85, vcc, 0, v45, vcc
	v_lshlrev_b32_e32 v60, 1, v107
	s_movk_i32 s12, 0x1000
	global_load_dwordx4 v[44:47], v[84:85], off offset:464
	global_load_dwordx4 v[48:51], v[82:83], off offset:16
	v_lshl_add_u64 v[82:83], v[60:61], 4, s[4:5]
	v_add_co_u32_e32 v92, vcc, s12, v82
	v_lshl_add_u64 v[90:91], v[82:83], 0, s[2:3]
	s_nop 0
	v_addc_co_u32_e32 v93, vcc, 0, v83, vcc
	global_load_dwordx4 v[82:85], v[92:93], off offset:464
	global_load_dwordx4 v[86:89], v[90:91], off offset:16
	v_lshlrev_b32_e32 v60, 1, v106
	v_lshl_add_u64 v[96:97], v[60:61], 4, s[4:5]
	v_add_co_u32_e32 v90, vcc, s12, v96
	v_lshlrev_b32_e32 v60, 1, v109
	s_nop 0
	v_addc_co_u32_e32 v91, vcc, 0, v97, vcc
	v_lshl_add_u64 v[96:97], v[96:97], 0, s[2:3]
	global_load_dwordx4 v[90:93], v[90:91], off offset:464
	v_lshl_add_u64 v[106:107], v[60:61], 4, s[4:5]
	global_load_dwordx4 v[96:99], v[96:97], off offset:16
	v_add_co_u32_e32 v100, vcc, s12, v106
	v_lshlrev_b32_e32 v60, 1, v104
	s_nop 0
	v_addc_co_u32_e32 v101, vcc, 0, v107, vcc
	v_lshl_add_u64 v[106:107], v[106:107], 0, s[2:3]
	global_load_dwordx4 v[100:103], v[100:101], off offset:464
	s_mov_b32 s6, 0xe8584caa
	global_load_dwordx4 v[110:113], v[106:107], off offset:16
	v_lshl_add_u64 v[106:107], v[60:61], 4, s[4:5]
	v_lshl_add_u64 v[122:123], v[106:107], 0, s[2:3]
	v_add_co_u32_e32 v106, vcc, s12, v106
	s_mov_b32 s7, 0xbfebb67a
	s_nop 0
	v_addc_co_u32_e32 v107, vcc, 0, v107, vcc
	global_load_dwordx4 v[114:117], v[106:107], off offset:464
	global_load_dwordx4 v[118:121], v[122:123], off offset:16
	s_mov_b32 s11, 0x3febb67a
	s_mov_b32 s10, s6
	s_movk_i32 s14, 0x240
	s_waitcnt vmcnt(9)
	v_mul_f64 v[106:107], v[4:5], v[46:47]
	s_waitcnt vmcnt(8)
	v_mul_f64 v[122:123], v[22:23], v[50:51]
	s_waitcnt lgkmcnt(8)
	v_mul_f64 v[46:47], v[24:25], v[46:47]
	s_waitcnt lgkmcnt(4)
	v_mul_f64 v[50:51], v[42:43], v[50:51]
	v_fma_f64 v[24:25], v[24:25], v[44:45], -v[106:107]
	v_fma_f64 v[42:43], v[42:43], v[48:49], -v[122:123]
	v_fmac_f64_e32 v[46:47], v[4:5], v[44:45]
	s_waitcnt vmcnt(7)
	v_mul_f64 v[124:125], v[18:19], v[84:85]
	s_waitcnt vmcnt(6)
	v_mul_f64 v[126:127], v[20:21], v[88:89]
	v_mul_f64 v[88:89], v[40:41], v[88:89]
	;; [unrolled: 1-line block ×3, first 2 shown]
	v_fmac_f64_e32 v[50:51], v[22:23], v[48:49]
	v_fma_f64 v[4:5], v[38:39], v[82:83], -v[124:125]
	v_fmac_f64_e32 v[88:89], v[20:21], v[86:87]
	s_waitcnt lgkmcnt(0)
	v_add_f64 v[20:21], v[80:81], v[24:25]
	v_fma_f64 v[106:107], v[40:41], v[86:87], -v[126:127]
	v_fmac_f64_e32 v[84:85], v[18:19], v[82:83]
	v_add_f64 v[18:19], v[24:25], v[42:43]
	v_add_f64 v[82:83], v[24:25], -v[42:43]
	v_add_f64 v[22:23], v[46:47], v[50:51]
	v_add_f64 v[40:41], v[20:21], v[42:43]
	;; [unrolled: 1-line block ×5, first 2 shown]
	v_fma_f64 v[22:23], -0.5, v[22:23], v[70:71]
	v_add_f64 v[70:71], v[42:43], v[106:107]
	v_add_f64 v[42:43], v[84:85], v[88:89]
	v_add_f64 v[48:49], v[46:47], -v[50:51]
	v_add_f64 v[46:47], v[84:85], -v[88:89]
	v_fma_f64 v[24:25], -0.5, v[18:19], v[80:81]
	v_fma_f64 v[44:45], -0.5, v[44:45], v[78:79]
	v_add_f64 v[4:5], v[4:5], -v[106:107]
	v_fma_f64 v[42:43], -0.5, v[42:43], v[68:69]
	v_fma_f64 v[20:21], s[6:7], v[48:49], v[24:25]
	v_fmac_f64_e32 v[24:25], s[10:11], v[48:49]
	v_fma_f64 v[48:49], s[6:7], v[46:47], v[44:45]
	v_fmac_f64_e32 v[44:45], s[10:11], v[46:47]
	;; [unrolled: 2-line block ×3, first 2 shown]
	v_add_f64 v[4:5], v[68:69], v[84:85]
	v_add_f64 v[38:39], v[38:39], v[50:51]
	;; [unrolled: 1-line block ×3, first 2 shown]
	s_waitcnt vmcnt(5)
	v_mul_f64 v[4:5], v[16:17], v[92:93]
	s_waitcnt vmcnt(4)
	v_mul_f64 v[50:51], v[14:15], v[98:99]
	v_fma_f64 v[4:5], v[36:37], v[90:91], -v[4:5]
	v_fma_f64 v[50:51], v[34:35], v[96:97], -v[50:51]
	v_mul_f64 v[80:81], v[36:37], v[92:93]
	v_mul_f64 v[34:35], v[34:35], v[98:99]
	v_add_f64 v[78:79], v[4:5], v[50:51]
	v_fmac_f64_e32 v[80:81], v[16:17], v[90:91]
	v_fmac_f64_e32 v[34:35], v[14:15], v[96:97]
	v_fma_f64 v[78:79], -0.5, v[78:79], v[76:77]
	v_add_f64 v[14:15], v[80:81], -v[34:35]
	v_fma_f64 v[16:17], s[6:7], v[14:15], v[78:79]
	v_fmac_f64_e32 v[78:79], s[10:11], v[14:15]
	v_add_f64 v[14:15], v[76:77], v[4:5]
	v_add_f64 v[36:37], v[14:15], v[50:51]
	;; [unrolled: 1-line block ×3, first 2 shown]
	v_add_f64 v[4:5], v[4:5], -v[50:51]
	v_fma_f64 v[76:77], -0.5, v[14:15], v[66:67]
	v_fma_f64 v[14:15], s[10:11], v[4:5], v[76:77]
	v_fmac_f64_e32 v[76:77], s[6:7], v[4:5]
	v_add_f64 v[4:5], v[66:67], v[80:81]
	v_add_f64 v[34:35], v[4:5], v[34:35]
	s_waitcnt vmcnt(3)
	v_mul_f64 v[4:5], v[10:11], v[102:103]
	s_waitcnt vmcnt(2)
	v_mul_f64 v[50:51], v[12:13], v[112:113]
	v_fma_f64 v[4:5], v[30:31], v[100:101], -v[4:5]
	v_fma_f64 v[50:51], v[32:33], v[110:111], -v[50:51]
	v_add_f64 v[66:67], v[4:5], v[50:51]
	v_fma_f64 v[18:19], s[10:11], v[82:83], v[22:23]
	v_fmac_f64_e32 v[22:23], s[6:7], v[82:83]
	v_fma_f64 v[82:83], -0.5, v[66:67], v[74:75]
	v_mul_f64 v[30:31], v[30:31], v[102:103]
	v_mul_f64 v[66:67], v[32:33], v[112:113]
	v_fmac_f64_e32 v[30:31], v[10:11], v[100:101]
	v_fmac_f64_e32 v[66:67], v[12:13], v[110:111]
	v_add_f64 v[10:11], v[30:31], -v[66:67]
	v_fma_f64 v[12:13], s[6:7], v[10:11], v[82:83]
	v_fmac_f64_e32 v[82:83], s[10:11], v[10:11]
	v_add_f64 v[10:11], v[74:75], v[4:5]
	v_add_f64 v[32:33], v[10:11], v[50:51]
	;; [unrolled: 1-line block ×3, first 2 shown]
	v_add_f64 v[4:5], v[4:5], -v[50:51]
	v_fma_f64 v[80:81], -0.5, v[10:11], v[64:65]
	v_fma_f64 v[10:11], s[10:11], v[4:5], v[80:81]
	v_fmac_f64_e32 v[80:81], s[6:7], v[4:5]
	v_add_f64 v[4:5], v[64:65], v[30:31]
	v_add_f64 v[30:31], v[4:5], v[66:67]
	s_waitcnt vmcnt(1)
	v_mul_f64 v[4:5], v[8:9], v[116:117]
	s_waitcnt vmcnt(0)
	v_mul_f64 v[50:51], v[6:7], v[120:121]
	v_mul_f64 v[74:75], v[28:29], v[116:117]
	v_fma_f64 v[4:5], v[28:29], v[114:115], -v[4:5]
	v_fma_f64 v[50:51], v[26:27], v[118:119], -v[50:51]
	v_fmac_f64_e32 v[74:75], v[8:9], v[114:115]
	v_mul_f64 v[8:9], v[26:27], v[120:121]
	v_add_f64 v[64:65], v[4:5], v[50:51]
	v_fmac_f64_e32 v[8:9], v[6:7], v[118:119]
	v_fma_f64 v[66:67], -0.5, v[64:65], v[72:73]
	v_add_f64 v[26:27], v[74:75], -v[8:9]
	v_fma_f64 v[6:7], s[6:7], v[26:27], v[66:67]
	v_fmac_f64_e32 v[66:67], s[10:11], v[26:27]
	v_add_f64 v[26:27], v[72:73], v[4:5]
	v_add_f64 v[28:29], v[26:27], v[50:51]
	v_add_f64 v[26:27], v[4:5], -v[50:51]
	v_add_f64 v[4:5], v[74:75], v[8:9]
	v_fma_f64 v[64:65], -0.5, v[4:5], v[62:63]
	v_fma_f64 v[4:5], s[10:11], v[26:27], v[64:65]
	v_fmac_f64_e32 v[64:65], s[6:7], v[26:27]
	v_add_f64 v[26:27], v[62:63], v[74:75]
	v_add_f64 v[26:27], v[26:27], v[8:9]
	v_mad_u64_u32 v[8:9], s[12:13], s8, v104, 0
	v_mov_b32_e32 v50, v9
	v_mad_u64_u32 v[50:51], s[12:13], s9, v104, v[50:51]
	v_mov_b32_e32 v9, v50
	v_lshl_add_u64 v[8:9], v[8:9], 4, v[94:95]
	global_store_dwordx4 v[8:9], v[26:29], off
	s_nop 1
	v_add_u32_e32 v27, 0x120, v104
	v_mad_u64_u32 v[8:9], s[12:13], s8, v27, 0
	v_mov_b32_e32 v26, v9
	v_mad_u64_u32 v[26:27], s[12:13], s9, v27, v[26:27]
	v_mov_b32_e32 v9, v26
	v_lshl_add_u64 v[8:9], v[8:9], 4, v[94:95]
	v_or_b32_e32 v27, 0x240, v104
	global_store_dwordx4 v[8:9], v[64:67], off
	v_mad_u64_u32 v[8:9], s[12:13], s8, v27, 0
	v_mov_b32_e32 v26, v9
	v_mad_u64_u32 v[26:27], s[12:13], s9, v27, v[26:27]
	v_mov_b32_e32 v9, v26
	v_lshl_add_u64 v[8:9], v[8:9], 4, v[94:95]
	global_store_dwordx4 v[8:9], v[4:7], off
	s_nop 1
	v_mad_u64_u32 v[4:5], s[12:13], s8, v105, 0
	v_mov_b32_e32 v6, v5
	v_mad_u64_u32 v[6:7], s[12:13], s9, v105, v[6:7]
	v_mov_b32_e32 v5, v6
	v_lshl_add_u64 v[4:5], v[4:5], 4, v[94:95]
	v_add_u32_e32 v7, 0x156, v104
	global_store_dwordx4 v[4:5], v[30:33], off
	v_mad_u64_u32 v[4:5], s[12:13], s8, v7, 0
	v_mov_b32_e32 v6, v5
	v_mad_u64_u32 v[6:7], s[12:13], s9, v7, v[6:7]
	v_mov_b32_e32 v5, v6
	v_lshl_add_u64 v[4:5], v[4:5], 4, v[94:95]
	v_add_u32_e32 v7, 0x276, v104
	global_store_dwordx4 v[4:5], v[80:83], off
	;; [unrolled: 7-line block ×8, first 2 shown]
	v_mad_u64_u32 v[4:5], s[12:13], s8, v7, 0
	v_mov_b32_e32 v6, v5
	v_mad_u64_u32 v[6:7], s[12:13], s9, v7, v[6:7]
	v_mov_b32_e32 v5, v6
	v_lshl_add_u64 v[4:5], v[4:5], 4, v[94:95]
	global_store_dwordx4 v[4:5], v[46:49], off
	v_add_u32_e32 v4, 0xd8, v104
	s_mov_b32 s12, 0x38e38e39
	v_mul_hi_u32 v5, v4, s12
	v_lshrrev_b32_e32 v5, 6, v5
	v_mad_u32_u24 v8, v5, s14, v4
	v_mad_u64_u32 v[4:5], s[12:13], s8, v8, 0
	v_mov_b32_e32 v6, v5
	v_mad_u64_u32 v[6:7], s[12:13], s9, v8, v[6:7]
	v_mov_b32_e32 v5, v6
	v_lshl_add_u64 v[4:5], v[4:5], 4, v[94:95]
	v_add_u32_e32 v7, 0x120, v8
	global_store_dwordx4 v[4:5], v[38:41], off
	v_mad_u64_u32 v[4:5], s[12:13], s8, v7, 0
	v_mov_b32_e32 v6, v5
	v_mad_u64_u32 v[6:7], s[12:13], s9, v7, v[6:7]
	v_mov_b32_e32 v5, v6
	v_lshl_add_u64 v[4:5], v[4:5], 4, v[94:95]
	v_add_u32_e32 v7, 0x240, v8
	global_store_dwordx4 v[4:5], v[22:25], off
	v_mad_u64_u32 v[4:5], s[12:13], s8, v7, 0
	v_mov_b32_e32 v6, v5
	v_mad_u64_u32 v[6:7], s[12:13], s9, v7, v[6:7]
	v_mov_b32_e32 v5, v6
	v_lshl_add_u64 v[4:5], v[4:5], 4, v[94:95]
	global_store_dwordx4 v[4:5], v[18:21], off
	s_and_b64 exec, exec, s[0:1]
	s_cbranch_execz .LBB0_34
; %bb.33:
	v_subrev_u32_e32 v4, 18, v104
	v_cndmask_b32_e64 v4, v4, v108, s[0:1]
	v_lshlrev_b32_e32 v60, 1, v4
	v_lshl_add_u64 v[8:9], v[60:61], 4, s[4:5]
	v_add_co_u32_e32 v4, vcc, 0x1000, v8
	v_mad_u64_u32 v[12:13], s[0:1], s8, v108, 0
	s_nop 0
	v_addc_co_u32_e32 v5, vcc, 0, v9, vcc
	v_lshl_add_u64 v[8:9], v[8:9], 0, s[2:3]
	global_load_dwordx4 v[4:7], v[4:5], off offset:464
	v_add_u32_e32 v21, 0x22e, v104
	global_load_dwordx4 v[8:11], v[8:9], off offset:16
	v_add_u32_e32 v23, 0x34e, v104
	v_mov_b32_e32 v14, v13
	v_mad_u64_u32 v[16:17], s[0:1], s8, v21, 0
	v_mad_u64_u32 v[18:19], s[0:1], s8, v23, 0
	;; [unrolled: 1-line block ×3, first 2 shown]
	v_mov_b32_e32 v20, v17
	v_mov_b32_e32 v22, v19
	;; [unrolled: 1-line block ×3, first 2 shown]
	v_mad_u64_u32 v[14:15], s[0:1], s9, v21, v[20:21]
	v_mad_u64_u32 v[20:21], s[0:1], s9, v23, v[22:23]
	v_mov_b32_e32 v17, v14
	v_mov_b32_e32 v19, v20
	v_lshl_add_u64 v[14:15], v[16:17], 4, v[94:95]
	v_lshl_add_u64 v[16:17], v[18:19], 4, v[94:95]
	;; [unrolled: 1-line block ×3, first 2 shown]
	s_waitcnt vmcnt(1)
	v_mul_f64 v[18:19], v[56:57], v[6:7]
	v_mul_f64 v[6:7], v[52:53], v[6:7]
	s_waitcnt vmcnt(0)
	v_mul_f64 v[20:21], v[58:59], v[10:11]
	v_mul_f64 v[10:11], v[54:55], v[10:11]
	v_fmac_f64_e32 v[18:19], v[52:53], v[4:5]
	v_fma_f64 v[4:5], v[56:57], v[4:5], -v[6:7]
	v_fmac_f64_e32 v[20:21], v[54:55], v[8:9]
	v_fma_f64 v[6:7], v[58:59], v[8:9], -v[10:11]
	v_add_f64 v[8:9], v[0:1], v[18:19]
	v_add_f64 v[10:11], v[18:19], v[20:21]
	;; [unrolled: 1-line block ×4, first 2 shown]
	v_add_f64 v[22:23], v[4:5], -v[6:7]
	v_add_f64 v[18:19], v[18:19], -v[20:21]
	v_add_f64 v[4:5], v[8:9], v[20:21]
	v_fmac_f64_e32 v[0:1], -0.5, v[10:11]
	v_add_f64 v[6:7], v[24:25], v[6:7]
	v_fmac_f64_e32 v[2:3], -0.5, v[26:27]
	v_fma_f64 v[8:9], s[6:7], v[22:23], v[0:1]
	v_fmac_f64_e32 v[0:1], s[10:11], v[22:23]
	v_fma_f64 v[10:11], s[10:11], v[18:19], v[2:3]
	v_fmac_f64_e32 v[2:3], s[6:7], v[18:19]
	global_store_dwordx4 v[12:13], v[4:7], off
	global_store_dwordx4 v[14:15], v[8:11], off
	;; [unrolled: 1-line block ×3, first 2 shown]
.LBB0_34:
	s_endpgm
	.section	.rodata,"a",@progbits
	.p2align	6, 0x0
	.amdhsa_kernel fft_rtc_back_len864_factors_3_6_16_3_wgs_54_tpt_54_halfLds_dp_ip_CI_sbrr_dirReg
		.amdhsa_group_segment_fixed_size 0
		.amdhsa_private_segment_fixed_size 0
		.amdhsa_kernarg_size 88
		.amdhsa_user_sgpr_count 2
		.amdhsa_user_sgpr_dispatch_ptr 0
		.amdhsa_user_sgpr_queue_ptr 0
		.amdhsa_user_sgpr_kernarg_segment_ptr 1
		.amdhsa_user_sgpr_dispatch_id 0
		.amdhsa_user_sgpr_kernarg_preload_length 0
		.amdhsa_user_sgpr_kernarg_preload_offset 0
		.amdhsa_user_sgpr_private_segment_size 0
		.amdhsa_uses_dynamic_stack 0
		.amdhsa_enable_private_segment 0
		.amdhsa_system_sgpr_workgroup_id_x 1
		.amdhsa_system_sgpr_workgroup_id_y 0
		.amdhsa_system_sgpr_workgroup_id_z 0
		.amdhsa_system_sgpr_workgroup_info 0
		.amdhsa_system_vgpr_workitem_id 0
		.amdhsa_next_free_vgpr 166
		.amdhsa_next_free_sgpr 24
		.amdhsa_accum_offset 168
		.amdhsa_reserve_vcc 1
		.amdhsa_float_round_mode_32 0
		.amdhsa_float_round_mode_16_64 0
		.amdhsa_float_denorm_mode_32 3
		.amdhsa_float_denorm_mode_16_64 3
		.amdhsa_dx10_clamp 1
		.amdhsa_ieee_mode 1
		.amdhsa_fp16_overflow 0
		.amdhsa_tg_split 0
		.amdhsa_exception_fp_ieee_invalid_op 0
		.amdhsa_exception_fp_denorm_src 0
		.amdhsa_exception_fp_ieee_div_zero 0
		.amdhsa_exception_fp_ieee_overflow 0
		.amdhsa_exception_fp_ieee_underflow 0
		.amdhsa_exception_fp_ieee_inexact 0
		.amdhsa_exception_int_div_zero 0
	.end_amdhsa_kernel
	.text
.Lfunc_end0:
	.size	fft_rtc_back_len864_factors_3_6_16_3_wgs_54_tpt_54_halfLds_dp_ip_CI_sbrr_dirReg, .Lfunc_end0-fft_rtc_back_len864_factors_3_6_16_3_wgs_54_tpt_54_halfLds_dp_ip_CI_sbrr_dirReg
                                        ; -- End function
	.section	.AMDGPU.csdata,"",@progbits
; Kernel info:
; codeLenInByte = 10312
; NumSgprs: 30
; NumVgprs: 166
; NumAgprs: 0
; TotalNumVgprs: 166
; ScratchSize: 0
; MemoryBound: 1
; FloatMode: 240
; IeeeMode: 1
; LDSByteSize: 0 bytes/workgroup (compile time only)
; SGPRBlocks: 3
; VGPRBlocks: 20
; NumSGPRsForWavesPerEU: 30
; NumVGPRsForWavesPerEU: 166
; AccumOffset: 168
; Occupancy: 3
; WaveLimiterHint : 1
; COMPUTE_PGM_RSRC2:SCRATCH_EN: 0
; COMPUTE_PGM_RSRC2:USER_SGPR: 2
; COMPUTE_PGM_RSRC2:TRAP_HANDLER: 0
; COMPUTE_PGM_RSRC2:TGID_X_EN: 1
; COMPUTE_PGM_RSRC2:TGID_Y_EN: 0
; COMPUTE_PGM_RSRC2:TGID_Z_EN: 0
; COMPUTE_PGM_RSRC2:TIDIG_COMP_CNT: 0
; COMPUTE_PGM_RSRC3_GFX90A:ACCUM_OFFSET: 41
; COMPUTE_PGM_RSRC3_GFX90A:TG_SPLIT: 0
	.text
	.p2alignl 6, 3212836864
	.fill 256, 4, 3212836864
	.type	__hip_cuid_691dbc2a7e4b980c,@object ; @__hip_cuid_691dbc2a7e4b980c
	.section	.bss,"aw",@nobits
	.globl	__hip_cuid_691dbc2a7e4b980c
__hip_cuid_691dbc2a7e4b980c:
	.byte	0                               ; 0x0
	.size	__hip_cuid_691dbc2a7e4b980c, 1

	.ident	"AMD clang version 19.0.0git (https://github.com/RadeonOpenCompute/llvm-project roc-6.4.0 25133 c7fe45cf4b819c5991fe208aaa96edf142730f1d)"
	.section	".note.GNU-stack","",@progbits
	.addrsig
	.addrsig_sym __hip_cuid_691dbc2a7e4b980c
	.amdgpu_metadata
---
amdhsa.kernels:
  - .agpr_count:     0
    .args:
      - .actual_access:  read_only
        .address_space:  global
        .offset:         0
        .size:           8
        .value_kind:     global_buffer
      - .offset:         8
        .size:           8
        .value_kind:     by_value
      - .actual_access:  read_only
        .address_space:  global
        .offset:         16
        .size:           8
        .value_kind:     global_buffer
      - .actual_access:  read_only
        .address_space:  global
        .offset:         24
        .size:           8
        .value_kind:     global_buffer
      - .offset:         32
        .size:           8
        .value_kind:     by_value
      - .actual_access:  read_only
        .address_space:  global
        .offset:         40
        .size:           8
        .value_kind:     global_buffer
      - .actual_access:  read_only
        .address_space:  global
        .offset:         48
        .size:           8
        .value_kind:     global_buffer
      - .offset:         56
        .size:           4
        .value_kind:     by_value
      - .actual_access:  read_only
        .address_space:  global
        .offset:         64
        .size:           8
        .value_kind:     global_buffer
      - .actual_access:  read_only
        .address_space:  global
        .offset:         72
        .size:           8
        .value_kind:     global_buffer
      - .address_space:  global
        .offset:         80
        .size:           8
        .value_kind:     global_buffer
    .group_segment_fixed_size: 0
    .kernarg_segment_align: 8
    .kernarg_segment_size: 88
    .language:       OpenCL C
    .language_version:
      - 2
      - 0
    .max_flat_workgroup_size: 54
    .name:           fft_rtc_back_len864_factors_3_6_16_3_wgs_54_tpt_54_halfLds_dp_ip_CI_sbrr_dirReg
    .private_segment_fixed_size: 0
    .sgpr_count:     30
    .sgpr_spill_count: 0
    .symbol:         fft_rtc_back_len864_factors_3_6_16_3_wgs_54_tpt_54_halfLds_dp_ip_CI_sbrr_dirReg.kd
    .uniform_work_group_size: 1
    .uses_dynamic_stack: false
    .vgpr_count:     166
    .vgpr_spill_count: 0
    .wavefront_size: 64
amdhsa.target:   amdgcn-amd-amdhsa--gfx950
amdhsa.version:
  - 1
  - 2
...

	.end_amdgpu_metadata
